;; amdgpu-corpus repo=ROCm/rocFFT kind=compiled arch=gfx1030 opt=O3
	.text
	.amdgcn_target "amdgcn-amd-amdhsa--gfx1030"
	.amdhsa_code_object_version 6
	.protected	bluestein_single_back_len3600_dim1_sp_op_CI_CI ; -- Begin function bluestein_single_back_len3600_dim1_sp_op_CI_CI
	.globl	bluestein_single_back_len3600_dim1_sp_op_CI_CI
	.p2align	8
	.type	bluestein_single_back_len3600_dim1_sp_op_CI_CI,@function
bluestein_single_back_len3600_dim1_sp_op_CI_CI: ; @bluestein_single_back_len3600_dim1_sp_op_CI_CI
; %bb.0:
	s_load_dwordx4 s[12:15], s[4:5], 0x28
	v_mul_u32_u24_e32 v1, 0x223, v0
	s_mov_b64 s[22:23], s[2:3]
	s_mov_b64 s[20:21], s[0:1]
	v_mov_b32_e32 v2, 0
	s_add_u32 s20, s20, s7
	v_lshrrev_b32_e32 v3, 16, v1
	s_addc_u32 s21, s21, 0
	s_mov_b32 s0, exec_lo
	v_add_nc_u32_e32 v1, s6, v3
	s_waitcnt lgkmcnt(0)
	v_cmpx_gt_u64_e64 s[12:13], v[1:2]
	s_cbranch_execz .LBB0_2
; %bb.1:
	s_clause 0x2
	s_load_dwordx4 s[8:11], s[4:5], 0x0
	s_load_dwordx4 s[16:19], s[4:5], 0x18
	s_load_dwordx2 s[12:13], s[4:5], 0x38
	v_mul_lo_u16 v2, 0x78, v3
	v_mov_b32_e32 v149, 3
	v_sub_nc_u16 v148, v0, v2
	v_and_b32_e32 v134, 0xffff, v148
	v_lshlrev_b32_e32 v83, 3, v134
	v_add_co_u32 v120, null, 0x78, v134
	s_waitcnt lgkmcnt(0)
	s_load_dwordx4 s[0:3], s[18:19], 0x0
	v_add_co_u32 v121, null, 0xf0, v134
	v_add_nc_u32_e32 v254, 0x3800, v83
	v_add_nc_u32_e32 v252, 0x5000, v83
	;; [unrolled: 1-line block ×10, first 2 shown]
	v_and_b32_e32 v122, 0xff, v120
	s_waitcnt lgkmcnt(0)
	v_mad_u64_u32 v[4:5], null, s2, v1, 0
	s_add_u32 s2, s8, 0x7080
	v_mov_b32_e32 v0, v5
	v_mad_u64_u32 v[2:3], null, s3, v1, v[0:1]
	s_addc_u32 s3, s9, 0
	v_mov_b32_e32 v5, v2
	buffer_store_dword v4, off, s[20:23], 0 offset:164 ; 4-byte Folded Spill
	buffer_store_dword v5, off, s[20:23], 0 offset:168 ; 4-byte Folded Spill
	s_load_dwordx4 s[4:7], s[16:17], 0x0
	s_waitcnt lgkmcnt(0)
	v_mad_u64_u32 v[2:3], null, s6, v1, 0
	v_add_co_u32 v36, s6, s8, v83
	v_add_co_ci_u32_e64 v37, null, s9, 0, s6
	s_mul_i32 s6, s5, 0xb40
	v_mov_b32_e32 v0, v3
	v_mad_u64_u32 v[0:1], null, s7, v1, v[0:1]
	s_mul_hi_u32 s7, s4, 0xb40
	s_add_i32 s6, s7, s6
	s_mul_i32 s7, s4, 0xb40
	v_mov_b32_e32 v3, v0
	v_mad_u64_u32 v[0:1], null, s4, v134, 0
	v_mad_u64_u32 v[4:5], null, s5, v134, v[1:2]
	v_lshlrev_b64 v[2:3], 3, v[2:3]
	v_add_co_u32 v10, vcc_lo, s14, v2
	v_mov_b32_e32 v1, v4
	global_load_dwordx2 v[4:5], v83, s[8:9]
	v_add_co_ci_u32_e32 v11, vcc_lo, s15, v3, vcc_lo
	s_mul_i32 s14, s5, 0xffff9e80
	v_lshlrev_b64 v[0:1], 3, v[0:1]
	s_sub_i32 s14, s14, s4
	v_add_co_u32 v0, vcc_lo, v10, v0
	v_add_co_ci_u32_e32 v1, vcc_lo, v11, v1, vcc_lo
	global_load_dwordx2 v[2:3], v[0:1], off
	v_add_co_u32 v0, vcc_lo, v0, s7
	v_add_co_ci_u32_e32 v1, vcc_lo, s6, v1, vcc_lo
	v_add_co_u32 v18, vcc_lo, 0x800, v36
	v_add_co_ci_u32_e32 v19, vcc_lo, 0, v37, vcc_lo
	s_waitcnt vmcnt(1)
	buffer_store_dword v4, off, s[20:23], 0 offset:172 ; 4-byte Folded Spill
	buffer_store_dword v5, off, s[20:23], 0 offset:176 ; 4-byte Folded Spill
	s_waitcnt vmcnt(0)
	v_mul_f32_e32 v14, v3, v5
	v_fmac_f32_e32 v14, v2, v4
	v_mul_f32_e32 v2, v2, v5
	global_load_dwordx2 v[5:6], v[18:19], off offset:832
	v_fma_f32 v15, v3, v4, -v2
	global_load_dwordx2 v[2:3], v[0:1], off
	v_add_co_u32 v0, vcc_lo, v0, s7
	v_add_co_ci_u32_e32 v1, vcc_lo, s6, v1, vcc_lo
	v_add_co_u32 v8, vcc_lo, 0x1000, v36
	v_add_co_ci_u32_e32 v9, vcc_lo, 0, v37, vcc_lo
	s_waitcnt vmcnt(1)
	buffer_store_dword v5, off, s[20:23], 0 offset:180 ; 4-byte Folded Spill
	buffer_store_dword v6, off, s[20:23], 0 offset:184 ; 4-byte Folded Spill
	s_waitcnt vmcnt(0)
	v_mul_f32_e32 v4, v3, v6
	v_fmac_f32_e32 v4, v2, v5
	v_mul_f32_e32 v2, v2, v6
	v_fma_f32 v5, v3, v5, -v2
	global_load_dwordx2 v[2:3], v[0:1], off
	v_add_co_u32 v0, vcc_lo, v0, s7
	v_add_co_ci_u32_e32 v1, vcc_lo, s6, v1, vcc_lo
	ds_write_b64 v83, v[4:5] offset:2880
	global_load_dwordx2 v[5:6], v[8:9], off offset:1664
	v_add_co_u32 v20, vcc_lo, 0x2000, v36
	v_add_co_ci_u32_e32 v21, vcc_lo, 0, v37, vcc_lo
	s_waitcnt vmcnt(0)
	buffer_store_dword v5, off, s[20:23], 0 offset:188 ; 4-byte Folded Spill
	buffer_store_dword v6, off, s[20:23], 0 offset:192 ; 4-byte Folded Spill
	v_mul_f32_e32 v4, v3, v6
	v_fmac_f32_e32 v4, v2, v5
	v_mul_f32_e32 v2, v2, v6
	v_fma_f32 v5, v3, v5, -v2
	global_load_dwordx2 v[2:3], v[0:1], off
	v_add_co_u32 v0, vcc_lo, v0, s7
	v_add_co_ci_u32_e32 v1, vcc_lo, s6, v1, vcc_lo
	ds_write_b64 v83, v[4:5] offset:5760
	global_load_dwordx2 v[5:6], v[20:21], off offset:448
	s_waitcnt vmcnt(0)
	buffer_store_dword v5, off, s[20:23], 0 offset:196 ; 4-byte Folded Spill
	buffer_store_dword v6, off, s[20:23], 0 offset:200 ; 4-byte Folded Spill
	v_mul_f32_e32 v4, v3, v6
	v_fmac_f32_e32 v4, v2, v5
	v_mul_f32_e32 v2, v2, v6
	v_add_co_u32 v6, vcc_lo, 0x2800, v36
	v_add_co_ci_u32_e32 v7, vcc_lo, 0, v37, vcc_lo
	v_fma_f32 v5, v3, v5, -v2
	global_load_dwordx2 v[2:3], v[0:1], off
	v_add_co_u32 v0, vcc_lo, v0, s7
	global_load_dwordx2 v[12:13], v[6:7], off offset:1280
	ds_write_b64 v83, v[4:5] offset:8640
	v_add_co_ci_u32_e32 v1, vcc_lo, s6, v1, vcc_lo
	s_waitcnt vmcnt(0)
	buffer_store_dword v12, off, s[20:23], 0 offset:204 ; 4-byte Folded Spill
	buffer_store_dword v13, off, s[20:23], 0 offset:208 ; 4-byte Folded Spill
	v_mul_f32_e32 v4, v3, v13
	v_fmac_f32_e32 v4, v2, v12
	v_mul_f32_e32 v2, v2, v13
	v_fma_f32 v5, v3, v12, -v2
	v_add_co_u32 v2, vcc_lo, 0x3800, v36
	v_add_co_ci_u32_e32 v3, vcc_lo, 0, v37, vcc_lo
	ds_write_b64 v83, v[4:5] offset:11520
	global_load_dwordx2 v[4:5], v[0:1], off
	v_add_co_u32 v0, vcc_lo, v0, s7
	global_load_dwordx2 v[16:17], v[2:3], off offset:64
	v_add_co_ci_u32_e32 v1, vcc_lo, s6, v1, vcc_lo
	s_waitcnt vmcnt(0)
	buffer_store_dword v16, off, s[20:23], 0 offset:280 ; 4-byte Folded Spill
	buffer_store_dword v17, off, s[20:23], 0 offset:284 ; 4-byte Folded Spill
	v_mul_f32_e32 v12, v5, v17
	v_fmac_f32_e32 v12, v4, v16
	v_mul_f32_e32 v4, v4, v17
	v_fma_f32 v13, v5, v16, -v4
	global_load_dwordx2 v[4:5], v[0:1], off
	ds_write_b64 v83, v[12:13] offset:14400
	v_add_co_u32 v12, vcc_lo, 0x4000, v36
	v_add_co_ci_u32_e32 v13, vcc_lo, 0, v37, vcc_lo
	global_load_dwordx2 v[22:23], v[12:13], off offset:896
	s_waitcnt vmcnt(0)
	buffer_store_dword v22, off, s[20:23], 0 offset:288 ; 4-byte Folded Spill
	buffer_store_dword v23, off, s[20:23], 0 offset:292 ; 4-byte Folded Spill
	v_mul_f32_e32 v16, v5, v23
	v_fmac_f32_e32 v16, v4, v22
	v_mul_f32_e32 v4, v4, v23
	v_fma_f32 v17, v5, v22, -v4
	v_add_co_u32 v4, vcc_lo, v0, s7
	v_add_co_ci_u32_e32 v5, vcc_lo, s6, v1, vcc_lo
	v_add_co_u32 v0, vcc_lo, 0x4800, v36
	v_add_co_ci_u32_e32 v1, vcc_lo, 0, v37, vcc_lo
	ds_write_b64 v83, v[16:17] offset:17280
	global_load_dwordx2 v[16:17], v[4:5], off
	v_add_co_u32 v4, vcc_lo, v4, s7
	global_load_dwordx2 v[23:24], v[0:1], off offset:1728
	v_add_co_ci_u32_e32 v5, vcc_lo, s6, v5, vcc_lo
	s_waitcnt vmcnt(0)
	buffer_store_dword v23, off, s[20:23], 0 offset:296 ; 4-byte Folded Spill
	buffer_store_dword v24, off, s[20:23], 0 offset:300 ; 4-byte Folded Spill
	v_mul_f32_e32 v22, v17, v24
	v_fmac_f32_e32 v22, v16, v23
	v_mul_f32_e32 v16, v16, v24
	v_fma_f32 v23, v17, v23, -v16
	v_add_co_u32 v16, vcc_lo, 0x5800, v36
	v_add_co_ci_u32_e32 v17, vcc_lo, 0, v37, vcc_lo
	ds_write_b64 v83, v[22:23] offset:20160
	global_load_dwordx2 v[22:23], v[4:5], off
	global_load_dwordx2 v[25:26], v[16:17], off offset:512
	s_waitcnt vmcnt(0)
	buffer_store_dword v25, off, s[20:23], 0 offset:304 ; 4-byte Folded Spill
	buffer_store_dword v26, off, s[20:23], 0 offset:308 ; 4-byte Folded Spill
	v_mul_f32_e32 v24, v23, v26
	v_fmac_f32_e32 v24, v22, v25
	v_mul_f32_e32 v22, v22, v26
	v_fma_f32 v25, v23, v25, -v22
	v_add_co_u32 v22, vcc_lo, v4, s7
	v_add_co_ci_u32_e32 v23, vcc_lo, s6, v5, vcc_lo
	v_add_co_u32 v4, vcc_lo, 0x6000, v36
	v_add_co_ci_u32_e32 v5, vcc_lo, 0, v37, vcc_lo
	ds_write_b64 v83, v[24:25] offset:23040
	global_load_dwordx2 v[24:25], v[22:23], off
	v_mad_u64_u32 v[22:23], null, 0xffff9e80, s4, v[22:23]
	global_load_dwordx2 v[27:28], v[4:5], off offset:1344
	s_waitcnt vmcnt(0)
	buffer_store_dword v27, off, s[20:23], 0 offset:312 ; 4-byte Folded Spill
	buffer_store_dword v28, off, s[20:23], 0 offset:316 ; 4-byte Folded Spill
	v_add_nc_u32_e32 v23, s14, v23
	v_mul_f32_e32 v26, v25, v28
	v_fmac_f32_e32 v26, v24, v27
	v_mul_f32_e32 v24, v24, v28
	v_fma_f32 v27, v25, v27, -v24
	ds_write_b64 v83, v[26:27] offset:25920
	global_load_dwordx2 v[24:25], v[22:23], off
	global_load_dwordx2 v[27:28], v83, s[8:9] offset:960
	s_waitcnt vmcnt(0)
	buffer_store_dword v27, off, s[20:23], 0 offset:132 ; 4-byte Folded Spill
	buffer_store_dword v28, off, s[20:23], 0 offset:136 ; 4-byte Folded Spill
	v_mul_f32_e32 v26, v25, v28
	v_fmac_f32_e32 v26, v24, v27
	v_mul_f32_e32 v24, v24, v28
	v_fma_f32 v27, v25, v27, -v24
	ds_write2_b64 v83, v[14:15], v[26:27] offset1:120
	v_add_co_u32 v14, vcc_lo, v22, s7
	v_add_co_ci_u32_e32 v15, vcc_lo, s6, v23, vcc_lo
	global_load_dwordx2 v[22:23], v[14:15], off
	global_load_dwordx2 v[25:26], v[18:19], off offset:1792
	v_add_co_u32 v14, vcc_lo, v14, s7
	v_add_co_ci_u32_e32 v15, vcc_lo, s6, v15, vcc_lo
	v_add_co_u32 v28, vcc_lo, 0x1800, v36
	v_add_co_ci_u32_e32 v29, vcc_lo, 0, v37, vcc_lo
	s_waitcnt vmcnt(0)
	buffer_store_dword v25, off, s[20:23], 0 offset:140 ; 4-byte Folded Spill
	buffer_store_dword v26, off, s[20:23], 0 offset:144 ; 4-byte Folded Spill
	v_mul_f32_e32 v24, v23, v26
	v_mul_f32_e32 v18, v22, v26
	v_fmac_f32_e32 v24, v22, v25
	v_fma_f32 v25, v23, v25, -v18
	global_load_dwordx2 v[22:23], v[28:29], off offset:576
	global_load_dwordx2 v[18:19], v[14:15], off
	s_waitcnt vmcnt(1)
	buffer_store_dword v22, off, s[20:23], 0 offset:100 ; 4-byte Folded Spill
	buffer_store_dword v23, off, s[20:23], 0 offset:104 ; 4-byte Folded Spill
	s_waitcnt vmcnt(0)
	v_mul_f32_e32 v26, v19, v23
	v_fmac_f32_e32 v26, v18, v22
	v_mul_f32_e32 v18, v18, v23
	v_fma_f32 v27, v19, v22, -v18
	v_add_co_u32 v18, vcc_lo, v14, s7
	v_add_co_ci_u32_e32 v19, vcc_lo, s6, v15, vcc_lo
	global_load_dwordx2 v[22:23], v[18:19], off
	global_load_dwordx2 v[20:21], v[20:21], off offset:1408
	s_waitcnt vmcnt(0)
	buffer_store_dword v20, off, s[20:23], 0 offset:108 ; 4-byte Folded Spill
	buffer_store_dword v21, off, s[20:23], 0 offset:112 ; 4-byte Folded Spill
	v_mul_f32_e32 v14, v23, v21
	v_mul_f32_e32 v15, v22, v21
	v_fmac_f32_e32 v14, v22, v20
	v_add_co_u32 v22, vcc_lo, v18, s7
	v_fma_f32 v15, v23, v20, -v15
	v_add_co_ci_u32_e32 v23, vcc_lo, s6, v19, vcc_lo
	v_add_co_u32 v20, vcc_lo, 0x3000, v36
	v_add_co_ci_u32_e32 v21, vcc_lo, 0, v37, vcc_lo
	global_load_dwordx2 v[30:31], v[22:23], off
	v_mad_u64_u32 v[22:23], null, 0x1680, s4, v[22:23]
	global_load_dwordx2 v[32:33], v[20:21], off offset:192
	s_waitcnt vmcnt(0)
	buffer_store_dword v32, off, s[20:23], 0 offset:84 ; 4-byte Folded Spill
	buffer_store_dword v33, off, s[20:23], 0 offset:88 ; 4-byte Folded Spill
	v_mul_f32_e32 v18, v31, v33
	v_mul_f32_e32 v19, v30, v33
	v_or_b32_e32 v33, 0x780, v134
	v_fmac_f32_e32 v18, v30, v32
	v_fma_f32 v19, v31, v32, -v19
	v_mad_u64_u32 v[30:31], null, s4, v33, 0
	buffer_store_dword v33, off, s[20:23], 0 offset:72 ; 4-byte Folded Spill
	v_mad_u64_u32 v[31:32], null, s5, v33, v[31:32]
	v_lshlrev_b64 v[30:31], 3, v[30:31]
	v_add_co_u32 v10, vcc_lo, v10, v30
	v_add_co_ci_u32_e32 v11, vcc_lo, v11, v31, vcc_lo
	global_load_dwordx2 v[30:31], v[10:11], off
	v_lshlrev_b32_e32 v10, 3, v33
	global_load_dwordx2 v[32:33], v10, s[8:9]
	buffer_store_dword v10, off, s[20:23], 0 offset:216 ; 4-byte Folded Spill
	s_waitcnt vmcnt(0)
	buffer_store_dword v32, off, s[20:23], 0 offset:76 ; 4-byte Folded Spill
	buffer_store_dword v33, off, s[20:23], 0 offset:80 ; 4-byte Folded Spill
	v_mul_f32_e32 v10, v31, v33
	v_mul_f32_e32 v11, v30, v33
	v_fmac_f32_e32 v10, v30, v32
	v_fma_f32 v11, v31, v32, -v11
	v_mad_u64_u32 v[30:31], null, 0x1680, s5, v[23:24]
	s_mul_hi_u32 s5, s0, 0xb40
	v_mov_b32_e32 v23, v30
	global_load_dwordx2 v[30:31], v[22:23], off
	global_load_dwordx2 v[33:34], v[12:13], off offset:1856
	s_waitcnt vmcnt(0)
	buffer_store_dword v33, off, s[20:23], 0 offset:156 ; 4-byte Folded Spill
	buffer_store_dword v34, off, s[20:23], 0 offset:160 ; 4-byte Folded Spill
	v_mul_f32_e32 v32, v31, v34
	v_mul_f32_e32 v12, v30, v34
	v_fmac_f32_e32 v32, v30, v33
	v_fma_f32 v33, v31, v33, -v12
	v_add_co_u32 v12, vcc_lo, v22, s7
	v_add_co_ci_u32_e32 v13, vcc_lo, s6, v23, vcc_lo
	v_add_co_u32 v34, vcc_lo, 0x5000, v36
	v_add_co_ci_u32_e32 v35, vcc_lo, 0, v37, vcc_lo
	global_load_dwordx2 v[22:23], v[12:13], off
	v_add_co_u32 v12, vcc_lo, v12, s7
	global_load_dwordx2 v[38:39], v[34:35], off offset:640
	v_add_co_ci_u32_e32 v13, vcc_lo, s6, v13, vcc_lo
	s_waitcnt vmcnt(0)
	buffer_store_dword v38, off, s[20:23], 0 offset:148 ; 4-byte Folded Spill
	buffer_store_dword v39, off, s[20:23], 0 offset:152 ; 4-byte Folded Spill
	v_mul_f32_e32 v30, v23, v39
	v_fmac_f32_e32 v30, v22, v38
	v_mul_f32_e32 v22, v22, v39
	v_fma_f32 v31, v23, v38, -v22
	global_load_dwordx2 v[38:39], v[12:13], off
	global_load_dwordx2 v[40:41], v[16:17], off offset:1472
	s_waitcnt vmcnt(0)
	buffer_store_dword v40, off, s[20:23], 0 offset:124 ; 4-byte Folded Spill
	buffer_store_dword v41, off, s[20:23], 0 offset:128 ; 4-byte Folded Spill
	v_mul_f32_e32 v22, v39, v41
	v_mul_f32_e32 v16, v38, v41
	v_fmac_f32_e32 v22, v38, v40
	v_add_co_u32 v38, vcc_lo, v12, s7
	v_fma_f32 v23, v39, v40, -v16
	v_add_co_ci_u32_e32 v39, vcc_lo, s6, v13, vcc_lo
	v_add_co_u32 v16, vcc_lo, 0x6800, v36
	v_add_co_ci_u32_e32 v17, vcc_lo, 0, v37, vcc_lo
	global_load_dwordx2 v[40:41], v[38:39], off
	global_load_dwordx2 v[36:37], v[16:17], off offset:256
	s_waitcnt vmcnt(0)
	buffer_store_dword v36, off, s[20:23], 0 offset:116 ; 4-byte Folded Spill
	buffer_store_dword v37, off, s[20:23], 0 offset:120 ; 4-byte Folded Spill
	v_mul_f32_e32 v12, v41, v37
	v_mul_f32_e32 v13, v40, v37
	v_fmac_f32_e32 v12, v40, v36
	v_fma_f32 v13, v41, v36, -v13
	v_mad_u64_u32 v[36:37], null, 0xffff9e80, s4, v[38:39]
	v_add_nc_u32_e32 v37, s14, v37
	global_load_dwordx2 v[38:39], v[36:37], off
	global_load_dwordx2 v[41:42], v83, s[8:9] offset:1920
	v_add_co_u32 v36, vcc_lo, v36, s7
	v_add_co_ci_u32_e32 v37, vcc_lo, s6, v37, vcc_lo
	s_waitcnt vmcnt(0)
	buffer_store_dword v41, off, s[20:23], 0 offset:92 ; 4-byte Folded Spill
	buffer_store_dword v42, off, s[20:23], 0 offset:96 ; 4-byte Folded Spill
	v_mul_f32_e32 v40, v39, v42
	v_fmac_f32_e32 v40, v38, v41
	v_mul_f32_e32 v38, v38, v42
	v_fma_f32 v41, v39, v41, -v38
	ds_write_b64 v83, v[40:41] offset:1920
	global_load_dwordx2 v[38:39], v[36:37], off
	global_load_dwordx2 v[40:41], v[8:9], off offset:704
	s_waitcnt vmcnt(0)
	buffer_store_dword v40, off, s[20:23], 0 offset:64 ; 4-byte Folded Spill
	buffer_store_dword v41, off, s[20:23], 0 offset:68 ; 4-byte Folded Spill
	v_mul_f32_e32 v8, v39, v41
	v_mul_f32_e32 v9, v38, v41
	v_fmac_f32_e32 v8, v38, v40
	v_fma_f32 v9, v39, v40, -v9
	v_add_nc_u32_e32 v38, 0xc00, v83
	ds_write2_b64 v38, v[24:25], v[8:9] offset0:96 offset1:216
	v_add_co_u32 v8, vcc_lo, v36, s7
	v_add_co_ci_u32_e32 v9, vcc_lo, s6, v37, vcc_lo
	global_load_dwordx2 v[24:25], v[8:9], off
	global_load_dwordx2 v[36:37], v[28:29], off offset:1536
	v_add_co_u32 v8, vcc_lo, v8, s7
	v_add_co_ci_u32_e32 v9, vcc_lo, s6, v9, vcc_lo
	v_mov_b32_e32 v135, v38
	s_waitcnt vmcnt(0)
	buffer_store_dword v36, off, s[20:23], 0 offset:48 ; 4-byte Folded Spill
	buffer_store_dword v37, off, s[20:23], 0 offset:52 ; 4-byte Folded Spill
	v_mov_b32_e32 v185, v135
	v_mul_f32_e32 v28, v25, v37
	v_fmac_f32_e32 v28, v24, v36
	v_mul_f32_e32 v24, v24, v37
	v_fma_f32 v29, v25, v36, -v24
	v_add_nc_u32_e32 v24, 0x1800, v83
	ds_write2_b64 v24, v[26:27], v[28:29] offset0:72 offset1:192
	global_load_dwordx2 v[24:25], v[8:9], off
	global_load_dwordx2 v[26:27], v[6:7], off offset:320
	s_waitcnt vmcnt(0)
	buffer_store_dword v26, off, s[20:23], 0 offset:56 ; 4-byte Folded Spill
	buffer_store_dword v27, off, s[20:23], 0 offset:60 ; 4-byte Folded Spill
	v_mul_f32_e32 v6, v25, v27
	v_mul_f32_e32 v7, v24, v27
	v_fmac_f32_e32 v6, v24, v26
	v_fma_f32 v7, v25, v26, -v7
	v_add_nc_u32_e32 v24, 0x2400, v83
	ds_write2_b64 v24, v[14:15], v[6:7] offset0:48 offset1:168
	v_add_co_u32 v6, vcc_lo, v8, s7
	v_add_co_ci_u32_e32 v7, vcc_lo, s6, v9, vcc_lo
	global_load_dwordx2 v[8:9], v[6:7], off
	global_load_dwordx2 v[20:21], v[20:21], off offset:1152
	v_add_co_u32 v6, vcc_lo, v6, s7
	v_add_co_ci_u32_e32 v7, vcc_lo, s6, v7, vcc_lo
	v_mov_b32_e32 v136, v24
	s_waitcnt vmcnt(0)
	buffer_store_dword v20, off, s[20:23], 0 offset:8 ; 4-byte Folded Spill
	buffer_store_dword v21, off, s[20:23], 0 offset:12 ; 4-byte Folded Spill
	v_mov_b32_e32 v184, v136
	v_mul_f32_e32 v14, v9, v21
	v_fmac_f32_e32 v14, v8, v20
	v_mul_f32_e32 v8, v8, v21
	v_fma_f32 v15, v9, v20, -v8
	v_add_nc_u32_e32 v8, 0x3000, v83
	ds_write2_b64 v8, v[18:19], v[14:15] offset0:24 offset1:144
	global_load_dwordx2 v[8:9], v[6:7], off
	global_load_dwordx2 v[14:15], v[2:3], off offset:1984
	s_waitcnt vmcnt(0)
	buffer_store_dword v14, off, s[20:23], 0 offset:16 ; 4-byte Folded Spill
	buffer_store_dword v15, off, s[20:23], 0 offset:20 ; 4-byte Folded Spill
	v_mul_f32_e32 v2, v9, v15
	v_mul_f32_e32 v3, v8, v15
	v_fmac_f32_e32 v2, v8, v14
	v_fma_f32 v3, v9, v14, -v3
	ds_write2_b64 v254, v[10:11], v[2:3] offset0:128 offset1:248
	v_add_co_u32 v2, vcc_lo, v6, s7
	v_add_co_ci_u32_e32 v3, vcc_lo, s6, v7, vcc_lo
	global_load_dwordx2 v[6:7], v[2:3], off
	global_load_dwordx2 v[8:9], v[0:1], off offset:768
	s_waitcnt vmcnt(0)
	buffer_store_dword v8, off, s[20:23], 0 offset:24 ; 4-byte Folded Spill
	buffer_store_dword v9, off, s[20:23], 0 offset:28 ; 4-byte Folded Spill
	v_mul_f32_e32 v0, v7, v9
	v_mul_f32_e32 v1, v6, v9
	v_fmac_f32_e32 v0, v6, v8
	v_fma_f32 v1, v7, v8, -v1
	v_add_nc_u32_e32 v6, 0x4400, v83
	ds_write2_b64 v6, v[32:33], v[0:1] offset0:104 offset1:224
	v_add_co_u32 v0, vcc_lo, v2, s7
	v_add_co_ci_u32_e32 v1, vcc_lo, s6, v3, vcc_lo
	global_load_dwordx2 v[2:3], v[0:1], off
	global_load_dwordx2 v[7:8], v[34:35], off offset:1600
	v_add_co_u32 v0, vcc_lo, v0, s7
	v_add_co_ci_u32_e32 v1, vcc_lo, s6, v1, vcc_lo
	s_waitcnt vmcnt(0)
	buffer_store_dword v7, off, s[20:23], 0 ; 4-byte Folded Spill
	buffer_store_dword v8, off, s[20:23], 0 offset:4 ; 4-byte Folded Spill
	v_mul_f32_e32 v6, v3, v8
	v_fmac_f32_e32 v6, v2, v7
	v_mul_f32_e32 v2, v2, v8
	v_fma_f32 v7, v3, v7, -v2
	ds_write2_b64 v252, v[30:31], v[6:7] offset0:80 offset1:200
	global_load_dwordx2 v[2:3], v[0:1], off
	global_load_dwordx2 v[5:6], v[4:5], off offset:384
	v_add_co_u32 v0, vcc_lo, v0, s7
	v_add_co_ci_u32_e32 v1, vcc_lo, s6, v1, vcc_lo
	v_cmp_gt_u16_e32 vcc_lo, 0x64, v148
	s_mul_i32 s6, s1, 0xffff9e80
	s_sub_i32 s6, s6, s0
	s_waitcnt vmcnt(0)
	v_mul_f32_e32 v4, v3, v6
	v_fmac_f32_e32 v4, v2, v5
	buffer_store_dword v5, off, s[20:23], 0 offset:32 ; 4-byte Folded Spill
	buffer_store_dword v6, off, s[20:23], 0 offset:36 ; 4-byte Folded Spill
	v_mul_f32_e32 v2, v2, v6
	v_fma_f32 v5, v3, v5, -v2
	v_add_nc_u32_e32 v2, 0x5c00, v83
	ds_write2_b64 v2, v[22:23], v[4:5] offset0:56 offset1:176
	global_load_dwordx2 v[0:1], v[0:1], off
	global_load_dwordx2 v[3:4], v[16:17], off offset:1216
	s_waitcnt vmcnt(0)
	buffer_store_dword v3, off, s[20:23], 0 offset:40 ; 4-byte Folded Spill
	buffer_store_dword v4, off, s[20:23], 0 offset:44 ; 4-byte Folded Spill
	v_mul_f32_e32 v2, v1, v4
	v_fmac_f32_e32 v2, v0, v3
	v_mul_f32_e32 v0, v0, v4
	v_add_nc_u32_e32 v4, 0x1400, v83
	v_fma_f32 v3, v1, v3, -v0
	v_mov_b32_e32 v183, v4
	ds_write2_b64 v192, v[12:13], v[2:3] offset0:32 offset1:152
	s_waitcnt lgkmcnt(0)
	s_waitcnt_vscnt null, 0x0
	s_barrier
	buffer_gl0_inv
	ds_read2_b64 v[75:78], v4 offset0:80 offset1:200
	v_add_nc_u32_e32 v4, 0x4000, v83
	ds_read2_b64 v[79:82], v191 offset0:32 offset1:152
	ds_read2_b64 v[71:74], v83 offset1:120
	ds_read2_b64 v[64:67], v255 offset0:64 offset1:184
	ds_read2_b64 v[56:59], v188 offset0:16 offset1:136
	;; [unrolled: 1-line block ×6, first 2 shown]
	v_mov_b32_e32 v141, v4
	ds_read2_b64 v[48:51], v189 offset0:48 offset1:168
	ds_read2_b64 v[4:7], v38 offset0:96 offset1:216
	;; [unrolled: 1-line block ×6, first 2 shown]
	s_waitcnt lgkmcnt(0)
	s_barrier
	buffer_gl0_inv
	v_sub_f32_e32 v21, v75, v79
	v_add_f32_e32 v16, v71, v75
	v_sub_f32_e32 v18, v76, v65
	v_add_f32_e32 v17, v79, v60
	v_sub_f32_e32 v20, v80, v61
	v_sub_f32_e32 v22, v64, v60
	v_add_f32_e32 v16, v16, v79
	v_sub_f32_e32 v24, v59, v47
	v_fma_f32 v17, -0.5, v17, v71
	v_sub_f32_e32 v26, v54, v58
	v_add_f32_e32 v21, v21, v22
	v_sub_f32_e32 v22, v60, v64
	v_add_f32_e32 v16, v16, v60
	v_fmamk_f32 v19, v18, 0x3f737871, v17
	v_fmac_f32_e32 v17, 0xbf737871, v18
	v_sub_f32_e32 v36, v50, v46
	v_sub_f32_e32 v37, v46, v50
	v_add_f32_e32 v16, v16, v64
	v_fmac_f32_e32 v19, 0x3f167918, v20
	v_fmac_f32_e32 v17, 0xbf167918, v20
	v_add_f32_e32 v26, v26, v36
	v_sub_f32_e32 v36, v58, v54
	v_sub_f32_e32 v38, v55, v59
	v_fmac_f32_e32 v19, 0x3e9e377a, v21
	v_fmac_f32_e32 v17, 0x3e9e377a, v21
	v_add_f32_e32 v21, v75, v64
	v_add_f32_e32 v36, v36, v37
	v_sub_f32_e32 v39, v51, v47
	v_sub_f32_e32 v40, v47, v51
	v_fma_f32 v23, -0.5, v21, v71
	v_sub_f32_e32 v21, v79, v75
	v_add_f32_e32 v38, v38, v39
	v_fmamk_f32 v25, v20, 0xbf737871, v23
	v_fmac_f32_e32 v23, 0x3f737871, v20
	v_add_f32_e32 v21, v21, v22
	v_sub_f32_e32 v20, v79, v60
	v_sub_f32_e32 v22, v65, v61
	v_fmac_f32_e32 v25, 0x3f167918, v18
	v_fmac_f32_e32 v23, 0xbf167918, v18
	v_add_f32_e32 v18, v72, v76
	v_fmac_f32_e32 v25, 0x3e9e377a, v21
	v_fmac_f32_e32 v23, 0x3e9e377a, v21
	v_add_f32_e32 v18, v18, v80
	v_sub_f32_e32 v21, v76, v80
	v_add_f32_e32 v18, v18, v61
	v_add_f32_e32 v21, v21, v22
	v_sub_f32_e32 v22, v61, v65
	v_add_f32_e32 v27, v18, v65
	v_add_f32_e32 v18, v80, v61
	v_fma_f32 v68, -0.5, v18, v72
	v_sub_f32_e32 v18, v75, v64
	v_fmamk_f32 v64, v18, 0xbf737871, v68
	v_fmac_f32_e32 v68, 0x3f737871, v18
	v_fmac_f32_e32 v64, 0xbf167918, v20
	;; [unrolled: 1-line block ×5, first 2 shown]
	v_add_f32_e32 v21, v76, v65
	v_fma_f32 v60, -0.5, v21, v72
	v_sub_f32_e32 v21, v80, v76
	v_mov_b32_e32 v80, v190
	v_fmamk_f32 v69, v20, 0x3f737871, v60
	v_fmac_f32_e32 v60, 0xbf737871, v20
	v_add_f32_e32 v21, v21, v22
	v_add_f32_e32 v20, v58, v46
	v_fmac_f32_e32 v69, 0xbf167918, v18
	v_fmac_f32_e32 v60, 0x3f167918, v18
	v_add_f32_e32 v18, v2, v54
	v_fmac_f32_e32 v69, 0x3e9e377a, v21
	v_fmac_f32_e32 v60, 0x3e9e377a, v21
	v_fma_f32 v21, -0.5, v20, v2
	v_sub_f32_e32 v20, v55, v51
	v_add_f32_e32 v18, v18, v58
	v_fmamk_f32 v22, v20, 0x3f737871, v21
	v_fmac_f32_e32 v21, 0xbf737871, v20
	v_add_f32_e32 v18, v18, v46
	v_fmac_f32_e32 v22, 0x3f167918, v24
	v_fmac_f32_e32 v21, 0xbf167918, v24
	v_add_f32_e32 v18, v18, v50
	v_fmac_f32_e32 v22, 0x3e9e377a, v26
	v_fmac_f32_e32 v21, 0x3e9e377a, v26
	v_add_f32_e32 v26, v54, v50
	v_fma_f32 v2, -0.5, v26, v2
	v_fmamk_f32 v26, v24, 0xbf737871, v2
	v_fmac_f32_e32 v2, 0x3f737871, v24
	v_fmac_f32_e32 v26, 0x3f167918, v20
	;; [unrolled: 1-line block ×3, first 2 shown]
	v_add_f32_e32 v20, v3, v55
	v_fmac_f32_e32 v26, 0x3e9e377a, v36
	v_fmac_f32_e32 v2, 0x3e9e377a, v36
	v_add_f32_e32 v20, v20, v59
	v_sub_f32_e32 v36, v58, v46
	v_mul_f32_e32 v46, 0x3f4f1bbd, v22
	v_sub_f32_e32 v58, v62, v66
	v_add_f32_e32 v20, v20, v47
	v_add_f32_e32 v61, v20, v51
	;; [unrolled: 1-line block ×4, first 2 shown]
	v_fma_f32 v24, -0.5, v20, v3
	v_sub_f32_e32 v20, v54, v50
	v_mul_f32_e32 v50, 0xbe9e377a, v2
	v_mul_f32_e32 v54, 0xbf167918, v22
	v_sub_f32_e32 v22, v16, v18
	v_fmamk_f32 v37, v20, 0xbf737871, v24
	v_fmac_f32_e32 v24, 0x3f737871, v20
	v_fmac_f32_e32 v37, 0xbf167918, v36
	v_fmac_f32_e32 v24, 0x3f167918, v36
	v_fmac_f32_e32 v37, 0x3e9e377a, v38
	v_fmac_f32_e32 v24, 0x3e9e377a, v38
	v_add_f32_e32 v38, v55, v51
	v_mul_f32_e32 v51, 0xbf4f1bbd, v21
	v_fmac_f32_e32 v46, 0x3f167918, v37
	v_fmac_f32_e32 v54, 0x3f4f1bbd, v37
	v_fma_f32 v3, -0.5, v38, v3
	v_sub_f32_e32 v38, v59, v55
	v_fmac_f32_e32 v51, 0x3f167918, v24
	v_mul_f32_e32 v55, 0xbf737871, v26
	v_add_f32_e32 v42, v19, v46
	v_fmamk_f32 v39, v36, 0x3f737871, v3
	v_fmac_f32_e32 v3, 0xbf737871, v36
	v_add_f32_e32 v38, v38, v40
	v_add_f32_e32 v40, v16, v18
	v_sub_f32_e32 v18, v17, v51
	v_fmac_f32_e32 v39, 0xbf167918, v20
	v_fmac_f32_e32 v3, 0x3f167918, v20
	v_add_f32_e32 v20, v17, v51
	v_add_f32_e32 v43, v64, v54
	v_sub_f32_e32 v51, v77, v81
	v_fmac_f32_e32 v39, 0x3e9e377a, v38
	v_fmac_f32_e32 v3, 0x3e9e377a, v38
	v_sub_f32_e32 v59, v78, v82
	v_mul_f32_e32 v47, 0x3f737871, v39
	v_fmac_f32_e32 v50, 0x3f737871, v3
	v_mul_f32_e32 v3, 0xbe9e377a, v3
	v_fmac_f32_e32 v55, 0x3e9e377a, v39
	v_fmac_f32_e32 v47, 0x3e9e377a, v26
	v_add_f32_e32 v38, v23, v50
	v_fmac_f32_e32 v3, 0xbf737871, v2
	v_mul_f32_e32 v2, 0xbf4f1bbd, v24
	v_sub_f32_e32 v24, v19, v46
	v_sub_f32_e32 v46, v78, v67
	v_add_f32_e32 v36, v25, v47
	v_add_f32_e32 v39, v60, v3
	v_sub_f32_e32 v17, v60, v3
	v_add_f32_e32 v3, v81, v62
	v_sub_f32_e32 v26, v25, v47
	v_sub_f32_e32 v16, v23, v50
	;; [unrolled: 1-line block ×4, first 2 shown]
	v_fma_f32 v3, -0.5, v3, v73
	v_sub_f32_e32 v54, v66, v62
	v_add_f32_e32 v37, v69, v55
	v_sub_f32_e32 v23, v27, v61
	v_sub_f32_e32 v27, v69, v55
	v_fmamk_f32 v47, v46, 0x3f737871, v3
	v_fmac_f32_e32 v3, 0xbf737871, v46
	v_add_f32_e32 v51, v51, v54
	v_sub_f32_e32 v55, v81, v77
	v_sub_f32_e32 v60, v67, v63
	v_fmac_f32_e32 v47, 0x3f167918, v50
	v_fmac_f32_e32 v3, 0xbf167918, v50
	v_fmac_f32_e32 v2, 0xbf167918, v21
	v_add_f32_e32 v55, v55, v58
	v_sub_f32_e32 v58, v81, v62
	v_fmac_f32_e32 v47, 0x3e9e377a, v51
	v_fmac_f32_e32 v3, 0x3e9e377a, v51
	v_add_f32_e32 v51, v77, v66
	v_add_f32_e32 v59, v59, v60
	v_sub_f32_e32 v60, v63, v67
	v_add_f32_e32 v21, v68, v2
	v_sub_f32_e32 v19, v68, v2
	v_fma_f32 v51, -0.5, v51, v73
	v_add_f32_e32 v2, v73, v77
	v_sub_f32_e32 v61, v33, v9
	v_sub_f32_e32 v64, v8, v12
	v_fmamk_f32 v54, v50, 0xbf737871, v51
	v_fmac_f32_e32 v51, 0x3f737871, v50
	v_add_f32_e32 v50, v82, v63
	v_add_f32_e32 v2, v2, v81
	v_fmac_f32_e32 v54, 0x3f167918, v46
	v_fmac_f32_e32 v51, 0xbf167918, v46
	v_fma_f32 v50, -0.5, v50, v74
	v_add_f32_e32 v46, v74, v78
	v_add_f32_e32 v2, v2, v62
	v_fmac_f32_e32 v54, 0x3e9e377a, v55
	v_fmac_f32_e32 v51, 0x3e9e377a, v55
	v_sub_f32_e32 v55, v77, v66
	v_add_f32_e32 v46, v46, v82
	v_sub_f32_e32 v62, v28, v32
	v_add_f32_e32 v2, v2, v66
	v_fmamk_f32 v65, v55, 0xbf737871, v50
	v_fmac_f32_e32 v50, 0x3f737871, v55
	v_add_f32_e32 v46, v46, v63
	v_sub_f32_e32 v63, v12, v8
	v_fmac_f32_e32 v65, 0xbf167918, v58
	v_fmac_f32_e32 v50, 0x3f167918, v58
	v_add_f32_e32 v46, v46, v67
	v_add_f32_e32 v62, v62, v63
	v_sub_f32_e32 v63, v32, v28
	v_fmac_f32_e32 v65, 0x3e9e377a, v59
	v_fmac_f32_e32 v50, 0x3e9e377a, v59
	v_add_f32_e32 v59, v78, v67
	v_add_f32_e32 v63, v63, v64
	v_fmac_f32_e32 v74, -0.5, v59
	v_sub_f32_e32 v59, v82, v78
	v_fmamk_f32 v75, v58, 0x3f737871, v74
	v_fmac_f32_e32 v74, 0xbf737871, v58
	v_add_f32_e32 v59, v59, v60
	v_add_f32_e32 v58, v32, v8
	v_fmac_f32_e32 v75, 0xbf167918, v55
	v_fmac_f32_e32 v74, 0x3f167918, v55
	v_add_f32_e32 v55, v4, v28
	v_fmac_f32_e32 v75, 0x3e9e377a, v59
	v_fmac_f32_e32 v74, 0x3e9e377a, v59
	v_fma_f32 v59, -0.5, v58, v4
	v_sub_f32_e32 v58, v29, v13
	v_add_f32_e32 v55, v55, v32
	v_fmamk_f32 v60, v58, 0x3f737871, v59
	v_fmac_f32_e32 v59, 0xbf737871, v58
	v_add_f32_e32 v55, v55, v8
	v_sub_f32_e32 v8, v32, v8
	v_sub_f32_e32 v32, v29, v33
	v_fmac_f32_e32 v60, 0x3f167918, v61
	v_fmac_f32_e32 v59, 0xbf167918, v61
	v_add_f32_e32 v55, v55, v12
	v_fmac_f32_e32 v60, 0x3e9e377a, v62
	v_fmac_f32_e32 v59, 0x3e9e377a, v62
	v_add_f32_e32 v62, v28, v12
	v_sub_f32_e32 v12, v28, v12
	v_add_f32_e32 v70, v2, v55
	v_fma_f32 v4, -0.5, v62, v4
	v_fmamk_f32 v62, v61, 0xbf737871, v4
	v_fmac_f32_e32 v4, 0x3f737871, v61
	v_fmac_f32_e32 v62, 0x3f167918, v58
	;; [unrolled: 1-line block ×3, first 2 shown]
	v_add_f32_e32 v58, v5, v29
	v_fmac_f32_e32 v62, 0x3e9e377a, v63
	v_fmac_f32_e32 v4, 0x3e9e377a, v63
	v_add_f32_e32 v58, v58, v33
	v_add_f32_e32 v58, v58, v9
	v_add_f32_e32 v61, v58, v13
	v_add_f32_e32 v58, v33, v9
	v_add_f32_e32 v71, v46, v61
	v_fma_f32 v63, -0.5, v58, v5
	v_sub_f32_e32 v58, v13, v9
	v_sub_f32_e32 v9, v9, v13
	;; [unrolled: 1-line block ×4, first 2 shown]
	v_fmamk_f32 v28, v12, 0xbf737871, v63
	v_fmac_f32_e32 v63, 0x3f737871, v12
	v_add_f32_e32 v32, v32, v58
	v_fmac_f32_e32 v28, 0xbf167918, v8
	v_fmac_f32_e32 v63, 0x3f167918, v8
	;; [unrolled: 1-line block ×4, first 2 shown]
	v_add_f32_e32 v32, v29, v13
	v_sub_f32_e32 v29, v33, v29
	v_mul_f32_e32 v13, 0xbf4f1bbd, v59
	v_sub_f32_e32 v33, v44, v48
	v_fma_f32 v5, -0.5, v32, v5
	v_add_f32_e32 v9, v29, v9
	v_mul_f32_e32 v29, 0xbf167918, v60
	v_fmac_f32_e32 v13, 0x3f167918, v63
	v_fmamk_f32 v32, v8, 0x3f737871, v5
	v_fmac_f32_e32 v5, 0xbf737871, v8
	v_mul_f32_e32 v8, 0x3f4f1bbd, v60
	v_fmac_f32_e32 v29, 0x3f4f1bbd, v28
	v_sub_f32_e32 v60, v2, v55
	v_fmac_f32_e32 v32, 0xbf167918, v12
	v_fmac_f32_e32 v5, 0x3f167918, v12
	;; [unrolled: 1-line block ×3, first 2 shown]
	v_mul_f32_e32 v28, 0xbf737871, v62
	v_mul_f32_e32 v12, 0xbe9e377a, v4
	v_fmac_f32_e32 v32, 0x3e9e377a, v9
	v_fmac_f32_e32 v5, 0x3e9e377a, v9
	v_add_f32_e32 v72, v47, v8
	v_add_f32_e32 v58, v3, v13
	;; [unrolled: 1-line block ×3, first 2 shown]
	v_mul_f32_e32 v9, 0x3f737871, v32
	v_fmac_f32_e32 v12, 0x3f737871, v5
	v_fmac_f32_e32 v28, 0x3e9e377a, v32
	v_mul_f32_e32 v5, 0xbe9e377a, v5
	v_mul_f32_e32 v32, 0xbf4f1bbd, v63
	v_fmac_f32_e32 v9, 0x3e9e377a, v62
	v_sub_f32_e32 v62, v47, v8
	v_add_f32_e32 v8, v0, v52
	v_add_f32_e32 v68, v51, v12
	v_fmac_f32_e32 v5, 0xbf737871, v4
	v_add_f32_e32 v66, v54, v9
	v_sub_f32_e32 v64, v54, v9
	v_add_f32_e32 v8, v8, v56
	v_fmac_f32_e32 v32, 0xbf167918, v59
	v_sub_f32_e32 v2, v51, v12
	v_sub_f32_e32 v12, v53, v49
	v_add_f32_e32 v67, v75, v28
	v_add_f32_e32 v8, v8, v44
	;; [unrolled: 1-line block ×4, first 2 shown]
	v_sub_f32_e32 v4, v3, v13
	v_sub_f32_e32 v63, v65, v29
	v_add_f32_e32 v9, v8, v48
	v_add_f32_e32 v8, v56, v44
	v_sub_f32_e32 v65, v75, v28
	v_sub_f32_e32 v3, v74, v5
	;; [unrolled: 1-line block ×4, first 2 shown]
	v_fma_f32 v8, -0.5, v8, v0
	v_sub_f32_e32 v29, v52, v56
	v_sub_f32_e32 v32, v48, v44
	v_fmamk_f32 v13, v12, 0x3f737871, v8
	v_fmac_f32_e32 v8, 0xbf737871, v12
	v_add_f32_e32 v29, v29, v32
	v_sub_f32_e32 v32, v56, v52
	v_fmac_f32_e32 v13, 0x3f167918, v28
	v_fmac_f32_e32 v8, 0xbf167918, v28
	v_add_f32_e32 v32, v32, v33
	v_sub_f32_e32 v33, v49, v45
	v_fmac_f32_e32 v13, 0x3e9e377a, v29
	v_fmac_f32_e32 v8, 0x3e9e377a, v29
	v_add_f32_e32 v29, v52, v48
	v_fma_f32 v0, -0.5, v29, v0
	v_fmamk_f32 v29, v28, 0xbf737871, v0
	v_fmac_f32_e32 v0, 0x3f737871, v28
	v_sub_f32_e32 v28, v56, v44
	v_sub_f32_e32 v44, v35, v11
	v_fmac_f32_e32 v29, 0x3f167918, v12
	v_fmac_f32_e32 v0, 0xbf167918, v12
	v_add_f32_e32 v12, v1, v53
	v_fmac_f32_e32 v29, 0x3e9e377a, v32
	v_fmac_f32_e32 v0, 0x3e9e377a, v32
	v_add_f32_e32 v12, v12, v57
	v_sub_f32_e32 v32, v53, v57
	v_add_f32_e32 v12, v12, v45
	v_add_f32_e32 v32, v32, v33
	v_sub_f32_e32 v33, v45, v49
	v_add_f32_e32 v50, v12, v49
	v_add_f32_e32 v12, v57, v45
	v_sub_f32_e32 v45, v30, v34
	v_fma_f32 v51, -0.5, v12, v1
	v_sub_f32_e32 v12, v52, v48
	v_add_f32_e32 v45, v45, v46
	v_sub_f32_e32 v46, v10, v14
	v_fmamk_f32 v48, v12, 0xbf737871, v51
	v_fmac_f32_e32 v51, 0x3f737871, v12
	v_fmac_f32_e32 v48, 0xbf167918, v28
	;; [unrolled: 1-line block ×5, first 2 shown]
	v_add_f32_e32 v32, v53, v49
	v_fmac_f32_e32 v1, -0.5, v32
	v_sub_f32_e32 v32, v57, v53
	v_fmamk_f32 v52, v28, 0x3f737871, v1
	v_fmac_f32_e32 v1, 0xbf737871, v28
	v_add_f32_e32 v32, v32, v33
	v_add_f32_e32 v28, v34, v10
	v_fmac_f32_e32 v52, 0xbf167918, v12
	v_fmac_f32_e32 v1, 0x3f167918, v12
	v_add_f32_e32 v12, v6, v30
	v_fma_f32 v28, -0.5, v28, v6
	v_fmac_f32_e32 v52, 0x3e9e377a, v32
	v_fmac_f32_e32 v1, 0x3e9e377a, v32
	v_sub_f32_e32 v32, v31, v15
	v_add_f32_e32 v12, v12, v34
	v_fmamk_f32 v33, v32, 0x3f737871, v28
	v_fmac_f32_e32 v28, 0xbf737871, v32
	v_add_f32_e32 v12, v12, v10
	v_sub_f32_e32 v10, v34, v10
	v_fmac_f32_e32 v33, 0x3f167918, v44
	v_fmac_f32_e32 v28, 0xbf167918, v44
	v_add_f32_e32 v12, v12, v14
	v_fmac_f32_e32 v33, 0x3e9e377a, v45
	v_fmac_f32_e32 v28, 0x3e9e377a, v45
	v_add_f32_e32 v45, v30, v14
	v_sub_f32_e32 v14, v30, v14
	v_mul_f32_e32 v57, 0xbf167918, v33
	v_mul_f32_e32 v56, 0xbf4f1bbd, v28
	v_fma_f32 v6, -0.5, v45, v6
	v_sub_f32_e32 v45, v34, v30
	v_sub_f32_e32 v34, v15, v11
	v_fmamk_f32 v49, v44, 0xbf737871, v6
	v_fmac_f32_e32 v6, 0x3f737871, v44
	v_add_f32_e32 v45, v45, v46
	v_add_f32_e32 v44, v9, v12
	v_sub_f32_e32 v12, v9, v12
	v_fmac_f32_e32 v49, 0x3f167918, v32
	v_fmac_f32_e32 v6, 0xbf167918, v32
	v_add_f32_e32 v32, v7, v31
	v_fmac_f32_e32 v49, 0x3e9e377a, v45
	v_fmac_f32_e32 v6, 0x3e9e377a, v45
	v_add_f32_e32 v32, v32, v35
	v_add_f32_e32 v32, v32, v11
	;; [unrolled: 1-line block ×4, first 2 shown]
	v_sub_f32_e32 v11, v11, v15
	v_add_f32_e32 v45, v50, v53
	v_fma_f32 v54, -0.5, v32, v7
	v_sub_f32_e32 v32, v31, v35
	v_fmamk_f32 v30, v14, 0xbf737871, v54
	v_fmac_f32_e32 v54, 0x3f737871, v14
	v_add_f32_e32 v32, v32, v34
	v_fmac_f32_e32 v30, 0xbf167918, v10
	v_fmac_f32_e32 v54, 0x3f167918, v10
	;; [unrolled: 1-line block ×4, first 2 shown]
	v_add_f32_e32 v32, v31, v15
	v_sub_f32_e32 v31, v35, v31
	v_fmac_f32_e32 v57, 0x3f4f1bbd, v30
	v_fmac_f32_e32 v56, 0x3f167918, v54
	v_fmac_f32_e32 v7, -0.5, v32
	v_add_f32_e32 v11, v31, v11
	v_mul_f32_e32 v31, 0xbe9e377a, v6
	v_mul_f32_e32 v54, 0xbf4f1bbd, v54
	v_add_f32_e32 v47, v48, v57
	v_fmamk_f32 v55, v10, 0x3f737871, v7
	v_fmac_f32_e32 v7, 0xbf737871, v10
	v_add_f32_e32 v10, v8, v56
	v_fmac_f32_e32 v54, 0xbf167918, v28
	v_sub_f32_e32 v8, v8, v56
	v_fmac_f32_e32 v55, 0xbf167918, v14
	v_fmac_f32_e32 v7, 0x3f167918, v14
	v_mul_f32_e32 v14, 0x3f4f1bbd, v33
	v_sub_f32_e32 v9, v51, v54
	v_fmac_f32_e32 v55, 0x3e9e377a, v11
	v_fmac_f32_e32 v7, 0x3e9e377a, v11
	;; [unrolled: 1-line block ×3, first 2 shown]
	v_add_f32_e32 v11, v51, v54
	v_mul_f32_e32 v15, 0x3f737871, v55
	v_fmac_f32_e32 v31, 0x3f737871, v7
	v_mul_f32_e32 v7, 0xbe9e377a, v7
	v_add_f32_e32 v46, v13, v14
	v_sub_f32_e32 v28, v13, v14
	v_fmac_f32_e32 v15, 0x3e9e377a, v49
	v_add_f32_e32 v34, v0, v31
	v_fmac_f32_e32 v7, 0xbf737871, v6
	v_sub_f32_e32 v6, v0, v31
	v_mul_lo_u16 v0, v148, 10
	v_mul_f32_e32 v49, 0xbf737871, v49
	v_add_f32_e32 v32, v29, v15
	v_add_f32_e32 v35, v1, v7
	v_sub_f32_e32 v13, v50, v53
	v_lshlrev_b32_sdwa v82, v149, v0 dst_sel:DWORD dst_unused:UNUSED_PAD src0_sel:DWORD src1_sel:WORD_0
	ds_write_b128 v82, v[40:43]
	ds_write_b128 v82, v[36:39] offset:16
	ds_write_b128 v82, v[20:23] offset:32
	;; [unrolled: 1-line block ×4, first 2 shown]
	v_and_b32_e32 v36, 0xff, v148
	v_mul_u32_u24_e32 v0, 10, v120
	v_fmac_f32_e32 v49, 0x3e9e377a, v55
	v_sub_f32_e32 v30, v29, v15
	v_sub_f32_e32 v29, v48, v57
	v_mul_lo_u16 v36, 0xcd, v36
	v_lshlrev_b32_e32 v244, 3, v0
	v_mul_u32_u24_e32 v0, 10, v121
	ds_write_b128 v244, v[70:73]
	ds_write_b128 v244, v[66:69] offset:16
	ds_write_b128 v244, v[58:61] offset:32
	;; [unrolled: 1-line block ×4, first 2 shown]
	v_lshrrev_b16 v113, 11, v36
	v_lshlrev_b32_e32 v81, 3, v0
	v_add_f32_e32 v33, v52, v49
	v_sub_f32_e32 v31, v52, v49
	v_sub_f32_e32 v7, v1, v7
	v_mul_lo_u16 v36, v113, 10
	ds_write_b128 v81, v[44:47]
	ds_write_b128 v81, v[32:35] offset:16
	ds_write_b128 v81, v[10:13] offset:32
	ds_write_b128 v81, v[28:31] offset:48
	ds_write_b128 v81, v[6:9] offset:64
	s_waitcnt lgkmcnt(0)
	s_barrier
	buffer_gl0_inv
	v_sub_nc_u16 v36, v148, v36
	ds_read2_b64 v[4:7], v83 offset1:120
	ds_read2_b64 v[0:3], v245 offset0:112 offset1:232
	ds_read2_b64 v[64:67], v183 offset0:80 offset1:200
	;; [unrolled: 1-line block ×14, first 2 shown]
	v_and_b32_e32 v112, 0xff, v36
	v_mad_u64_u32 v[72:73], null, 0x48, v112, s[10:11]
	s_clause 0x4
	global_load_dwordx4 v[36:39], v[72:73], off offset:48
	global_load_dwordx4 v[40:43], v[72:73], off offset:32
	global_load_dwordx4 v[44:47], v[72:73], off offset:16
	global_load_dwordx4 v[52:55], v[72:73], off
	global_load_dwordx2 v[248:249], v[72:73], off offset:64
	s_waitcnt vmcnt(4) lgkmcnt(6)
	v_mul_f32_e32 v100, v56, v39
	s_waitcnt vmcnt(3)
	v_mul_f32_e32 v99, v60, v43
	s_waitcnt vmcnt(2)
	;; [unrolled: 2-line block ×3, first 2 shown]
	v_mul_f32_e32 v74, v3, v53
	v_mul_f32_e32 v97, v64, v55
	v_fmac_f32_e32 v100, v57, v38
	v_fmac_f32_e32 v99, v61, v42
	;; [unrolled: 1-line block ×3, first 2 shown]
	v_fma_f32 v93, v2, v52, -v74
	v_mul_f32_e32 v2, v2, v53
	v_fmac_f32_e32 v97, v65, v54
	v_fmac_f32_e32 v2, v3, v52
	v_mul_f32_e32 v3, v65, v55
	v_fma_f32 v101, v64, v54, -v3
	v_mul_f32_e32 v3, v51, v45
	v_fma_f32 v92, v50, v44, -v3
	v_mul_f32_e32 v3, v69, v47
	v_mul_f32_e32 v50, v50, v45
	v_fma_f32 v102, v68, v46, -v3
	v_mul_f32_e32 v3, v31, v41
	v_fmac_f32_e32 v50, v51, v44
	s_waitcnt vmcnt(0) lgkmcnt(5)
	v_mul_f32_e32 v51, v14, v249
	v_fma_f32 v94, v30, v40, -v3
	v_mul_f32_e32 v3, v61, v43
	v_mul_f32_e32 v30, v30, v41
	v_fmac_f32_e32 v51, v15, v248
	v_fma_f32 v103, v60, v42, -v3
	v_mul_f32_e32 v3, v23, v37
	v_fmac_f32_e32 v30, v31, v40
	v_mul_f32_e32 v31, v22, v37
	v_fma_f32 v95, v22, v36, -v3
	v_mul_f32_e32 v3, v57, v39
	v_fmac_f32_e32 v31, v23, v36
	v_fma_f32 v104, v56, v38, -v3
	v_mul_f32_e32 v3, v15, v249
	v_fma_f32 v96, v14, v248, -v3
	v_mul_lo_u16 v3, 0xcd, v122
	v_lshrrev_b16 v111, 11, v3
	v_mul_lo_u16 v3, v111, 10
	v_sub_nc_u16 v3, v120, v3
	v_and_b32_e32 v110, 0xff, v3
	v_mad_u64_u32 v[56:57], null, 0x48, v110, s[10:11]
	s_clause 0x4
	global_load_dwordx4 v[72:75], v[56:57], off offset:48
	global_load_dwordx4 v[76:79], v[56:57], off offset:32
	;; [unrolled: 1-line block ×3, first 2 shown]
	global_load_dwordx4 v[84:87], v[56:57], off
	global_load_dwordx2 v[228:229], v[56:57], off offset:64
	s_waitcnt vmcnt(4)
	v_mul_f32_e32 v119, v58, v75
	s_waitcnt vmcnt(3)
	v_mul_f32_e32 v117, v62, v79
	;; [unrolled: 2-line block ×3, first 2 shown]
	s_waitcnt vmcnt(1) lgkmcnt(4)
	v_mul_f32_e32 v14, v88, v85
	v_mul_f32_e32 v15, v67, v87
	;; [unrolled: 1-line block ×3, first 2 shown]
	v_fmac_f32_e32 v117, v63, v78
	v_fma_f32 v114, v70, v222, -v23
	v_fmac_f32_e32 v14, v89, v84
	v_fma_f32 v89, v66, v86, -v15
	s_waitcnt lgkmcnt(3)
	v_mul_f32_e32 v15, v33, v221
	s_waitcnt lgkmcnt(2)
	v_mul_f32_e32 v23, v25, v77
	v_fma_f32 v3, v88, v84, -v3
	v_mul_f32_e32 v88, v66, v87
	v_fmac_f32_e32 v119, v59, v74
	v_fma_f32 v22, v32, v220, -v15
	v_mul_f32_e32 v15, v32, v221
	v_fma_f32 v32, v24, v76, -v23
	v_mul_f32_e32 v23, v24, v77
	v_mul_f32_e32 v24, v63, v79
	v_fmac_f32_e32 v88, v67, v86
	v_fmac_f32_e32 v15, v33, v220
	v_mul_f32_e32 v33, v70, v223
	v_fmac_f32_e32 v23, v25, v76
	v_fma_f32 v123, v62, v78, -v24
	s_waitcnt lgkmcnt(1)
	v_mul_f32_e32 v24, v17, v73
	s_waitcnt vmcnt(0) lgkmcnt(0)
	v_mul_f32_e32 v25, v8, v229
	v_fmac_f32_e32 v33, v71, v222
	v_fma_f32 v24, v16, v72, -v24
	v_mul_f32_e32 v16, v16, v73
	v_fmac_f32_e32 v25, v9, v228
	v_fmac_f32_e32 v16, v17, v72
	v_mul_f32_e32 v17, v59, v75
	v_fma_f32 v126, v58, v74, -v17
	v_mul_f32_e32 v17, v9, v229
	v_fma_f32 v116, v8, v228, -v17
	v_mov_b32_e32 v8, 0xcccd
	v_mul_u32_u24_sdwa v8, v121, v8 dst_sel:DWORD dst_unused:UNUSED_PAD src0_sel:WORD_0 src1_sel:DWORD
	v_lshrrev_b32_e32 v108, 19, v8
	v_mul_lo_u16 v8, v108, 10
	v_sub_nc_u16 v109, v121, v8
	v_mul_lo_u16 v8, 0x48, v109
	v_and_b32_e32 v8, 0xffff, v8
	v_add_co_u32 v105, s4, s10, v8
	v_add_co_ci_u32_e64 v106, null, s11, 0, s4
	s_clause 0x4
	global_load_dwordx4 v[56:59], v[105:106], off offset:48
	global_load_dwordx4 v[60:63], v[105:106], off offset:32
	;; [unrolled: 1-line block ×3, first 2 shown]
	global_load_dwordx4 v[68:71], v[105:106], off
	global_load_dwordx2 v[224:225], v[105:106], off offset:64
	s_waitcnt vmcnt(0)
	s_barrier
	buffer_gl0_inv
	v_mul_f32_e32 v118, v26, v61
	v_mul_f32_e32 v128, v28, v67
	;; [unrolled: 1-line block ×5, first 2 shown]
	v_fmac_f32_e32 v118, v27, v60
	v_fmac_f32_e32 v128, v29, v66
	v_fma_f32 v127, v48, v70, -v17
	v_mul_f32_e32 v17, v35, v65
	v_fmac_f32_e32 v131, v21, v62
	v_fmac_f32_e32 v124, v49, v70
	v_sub_f32_e32 v48, v97, v98
	v_sub_f32_e32 v49, v100, v99
	v_fma_f32 v115, v34, v64, -v17
	v_mul_f32_e32 v17, v34, v65
	v_mul_f32_e32 v34, v29, v67
	v_sub_f32_e32 v29, v104, v103
	v_add_f32_e32 v48, v48, v49
	v_mul_f32_e32 v8, v91, v69
	v_fmac_f32_e32 v17, v35, v64
	v_fma_f32 v130, v28, v66, -v34
	v_mul_f32_e32 v28, v27, v61
	v_sub_f32_e32 v27, v97, v100
	v_sub_f32_e32 v34, v103, v104
	v_sub_f32_e32 v35, v102, v103
	v_fma_f32 v8, v90, v68, -v8
	v_fma_f32 v125, v26, v60, -v28
	v_mul_f32_e32 v26, v21, v63
	v_sub_f32_e32 v28, v98, v99
	v_mul_f32_e32 v9, v90, v69
	v_sub_f32_e32 v49, v98, v97
	v_sub_f32_e32 v90, v99, v100
	v_fma_f32 v132, v20, v62, -v26
	v_mul_f32_e32 v20, v19, v57
	v_sub_f32_e32 v26, v101, v102
	v_fmac_f32_e32 v9, v91, v68
	v_add_f32_e32 v49, v49, v90
	v_sub_f32_e32 v90, v30, v31
	v_fma_f32 v129, v18, v56, -v20
	v_mul_f32_e32 v18, v18, v57
	v_add_f32_e32 v26, v26, v29
	v_sub_f32_e32 v29, v102, v101
	v_fmac_f32_e32 v18, v19, v56
	v_mul_f32_e32 v19, v13, v59
	v_add_f32_e32 v29, v29, v34
	v_sub_f32_e32 v34, v101, v104
	v_fma_f32 v19, v12, v58, -v19
	v_mul_f32_e32 v12, v12, v59
	v_fmac_f32_e32 v12, v13, v58
	v_mul_f32_e32 v13, v11, v225
	v_fma_f32 v13, v10, v224, -v13
	v_mul_f32_e32 v10, v10, v225
	v_fmac_f32_e32 v10, v11, v224
	v_add_f32_e32 v11, v4, v101
	v_add_f32_e32 v11, v11, v102
	;; [unrolled: 1-line block ×5, first 2 shown]
	v_fma_f32 v11, -0.5, v11, v4
	v_fmamk_f32 v21, v27, 0x3f737871, v11
	v_fmac_f32_e32 v11, 0xbf737871, v27
	v_fmac_f32_e32 v21, 0x3f167918, v28
	;; [unrolled: 1-line block ×5, first 2 shown]
	v_add_f32_e32 v26, v101, v104
	v_fma_f32 v4, -0.5, v26, v4
	v_fmamk_f32 v26, v28, 0xbf737871, v4
	v_fmac_f32_e32 v4, 0x3f737871, v28
	v_fmac_f32_e32 v26, 0x3f167918, v27
	;; [unrolled: 1-line block ×3, first 2 shown]
	v_add_f32_e32 v27, v5, v97
	v_fmac_f32_e32 v26, 0x3e9e377a, v29
	v_fmac_f32_e32 v4, 0x3e9e377a, v29
	v_add_f32_e32 v27, v27, v98
	v_add_f32_e32 v27, v27, v99
	;; [unrolled: 1-line block ×4, first 2 shown]
	v_sub_f32_e32 v98, v96, v95
	v_sub_f32_e32 v99, v95, v96
	v_fma_f32 v27, -0.5, v27, v5
	v_fmamk_f32 v29, v34, 0xbf737871, v27
	v_fmac_f32_e32 v27, 0x3f737871, v34
	v_fmac_f32_e32 v29, 0xbf167918, v35
	;; [unrolled: 1-line block ×5, first 2 shown]
	v_add_f32_e32 v48, v97, v100
	v_sub_f32_e32 v97, v92, v94
	v_fma_f32 v5, -0.5, v48, v5
	v_add_f32_e32 v97, v97, v98
	v_sub_f32_e32 v98, v94, v92
	v_fmamk_f32 v48, v35, 0x3f737871, v5
	v_fmac_f32_e32 v5, 0xbf737871, v35
	v_add_f32_e32 v35, v94, v95
	v_add_f32_e32 v98, v98, v99
	v_fmac_f32_e32 v48, 0xbf167918, v34
	v_fmac_f32_e32 v5, 0x3f167918, v34
	v_fma_f32 v35, -0.5, v35, v93
	v_add_f32_e32 v34, v93, v92
	v_fmac_f32_e32 v48, 0x3e9e377a, v49
	v_fmac_f32_e32 v5, 0x3e9e377a, v49
	v_sub_f32_e32 v49, v50, v51
	v_add_f32_e32 v34, v34, v94
	v_fmamk_f32 v91, v49, 0x3f737871, v35
	v_fmac_f32_e32 v35, 0xbf737871, v49
	v_add_f32_e32 v34, v34, v95
	v_fmac_f32_e32 v91, 0x3f167918, v90
	v_fmac_f32_e32 v35, 0xbf167918, v90
	v_add_f32_e32 v34, v34, v96
	v_fmac_f32_e32 v91, 0x3e9e377a, v97
	v_fmac_f32_e32 v35, 0x3e9e377a, v97
	v_add_f32_e32 v97, v92, v96
	v_add_f32_e32 v104, v20, v34
	v_sub_f32_e32 v102, v20, v34
	v_mul_f32_e32 v101, 0xbf167918, v91
	v_mul_f32_e32 v99, 0xbf4f1bbd, v35
	v_fmac_f32_e32 v93, -0.5, v97
	v_sub_f32_e32 v20, v33, v117
	v_sub_f32_e32 v34, v116, v24
	v_fmamk_f32 v97, v90, 0xbf737871, v93
	v_fmac_f32_e32 v93, 0x3f737871, v90
	v_add_f32_e32 v90, v30, v31
	v_fmac_f32_e32 v97, 0x3f167918, v49
	v_fmac_f32_e32 v93, 0xbf167918, v49
	v_add_f32_e32 v49, v2, v50
	v_fmac_f32_e32 v97, 0x3e9e377a, v98
	v_fmac_f32_e32 v93, 0x3e9e377a, v98
	v_fma_f32 v98, -0.5, v90, v2
	v_sub_f32_e32 v90, v92, v96
	v_sub_f32_e32 v92, v94, v95
	;; [unrolled: 1-line block ×4, first 2 shown]
	v_add_f32_e32 v49, v49, v30
	v_fmamk_f32 v96, v90, 0xbf737871, v98
	v_fmac_f32_e32 v98, 0x3f737871, v90
	v_sub_f32_e32 v30, v30, v50
	v_add_f32_e32 v94, v94, v95
	v_add_f32_e32 v49, v49, v31
	v_fmac_f32_e32 v96, 0xbf167918, v92
	v_fmac_f32_e32 v98, 0x3f167918, v92
	v_sub_f32_e32 v31, v31, v51
	v_mul_f32_e32 v95, 0xbe9e377a, v93
	v_add_f32_e32 v49, v49, v51
	v_fmac_f32_e32 v96, 0x3e9e377a, v94
	v_fmac_f32_e32 v98, 0x3e9e377a, v94
	v_add_f32_e32 v94, v50, v51
	v_add_f32_e32 v30, v30, v31
	;; [unrolled: 1-line block ×3, first 2 shown]
	v_fmac_f32_e32 v101, 0x3f4f1bbd, v96
	v_fmac_f32_e32 v99, 0x3f167918, v98
	v_fmac_f32_e32 v2, -0.5, v94
	v_mul_f32_e32 v133, 0xbf4f1bbd, v98
	v_sub_f32_e32 v103, v28, v49
	v_add_f32_e32 v107, v29, v101
	v_add_f32_e32 v50, v11, v99
	v_fmamk_f32 v94, v92, 0x3f737871, v2
	v_fmac_f32_e32 v2, 0xbf737871, v92
	v_fmac_f32_e32 v133, 0xbf167918, v35
	v_sub_f32_e32 v28, v88, v33
	v_sub_f32_e32 v35, v24, v116
	v_fmac_f32_e32 v94, 0xbf167918, v90
	v_fmac_f32_e32 v2, 0x3f167918, v90
	v_add_f32_e32 v51, v27, v133
	v_fmac_f32_e32 v94, 0x3e9e377a, v30
	v_fmac_f32_e32 v2, 0x3e9e377a, v30
	v_mul_f32_e32 v30, 0x3f167918, v96
	v_sub_f32_e32 v96, v11, v99
	v_sub_f32_e32 v99, v29, v101
	v_mul_f32_e32 v31, 0x3f737871, v94
	v_fmac_f32_e32 v95, 0x3f737871, v2
	v_mul_f32_e32 v2, 0xbe9e377a, v2
	v_fmac_f32_e32 v30, 0x3f4f1bbd, v91
	v_sub_f32_e32 v29, v119, v117
	v_fmac_f32_e32 v31, 0x3e9e377a, v97
	v_mul_f32_e32 v97, 0xbf737871, v97
	v_add_f32_e32 v92, v4, v95
	v_fmac_f32_e32 v2, 0xbf737871, v93
	v_add_f32_e32 v106, v21, v30
	v_add_f32_e32 v90, v26, v31
	v_fmac_f32_e32 v97, 0x3e9e377a, v94
	v_sub_f32_e32 v94, v4, v95
	v_add_f32_e32 v4, v114, v123
	v_add_f32_e32 v93, v5, v2
	v_sub_f32_e32 v95, v5, v2
	v_sub_f32_e32 v5, v88, v119
	;; [unrolled: 1-line block ×3, first 2 shown]
	v_fma_f32 v4, -0.5, v4, v6
	v_sub_f32_e32 v100, v26, v31
	v_sub_f32_e32 v21, v89, v114
	v_sub_f32_e32 v26, v126, v123
	v_add_f32_e32 v2, v6, v89
	v_fmamk_f32 v11, v5, 0x3f737871, v4
	v_fmac_f32_e32 v4, 0xbf737871, v5
	v_add_f32_e32 v91, v48, v97
	v_add_f32_e32 v21, v21, v26
	v_sub_f32_e32 v101, v48, v97
	v_fmac_f32_e32 v11, 0x3f167918, v20
	v_fmac_f32_e32 v4, 0xbf167918, v20
	v_sub_f32_e32 v97, v27, v133
	v_sub_f32_e32 v26, v114, v89
	;; [unrolled: 1-line block ×3, first 2 shown]
	v_fmac_f32_e32 v11, 0x3e9e377a, v21
	v_fmac_f32_e32 v4, 0x3e9e377a, v21
	v_add_f32_e32 v21, v89, v126
	v_add_f32_e32 v28, v28, v29
	;; [unrolled: 1-line block ×3, first 2 shown]
	v_sub_f32_e32 v30, v117, v119
	v_sub_f32_e32 v31, v23, v16
	v_fma_f32 v6, -0.5, v21, v6
	v_add_f32_e32 v2, v2, v114
	v_fmamk_f32 v21, v20, 0xbf737871, v6
	v_fmac_f32_e32 v6, 0x3f737871, v20
	v_add_f32_e32 v20, v33, v117
	v_add_f32_e32 v2, v2, v123
	v_fmac_f32_e32 v21, 0x3f167918, v5
	v_fmac_f32_e32 v6, 0xbf167918, v5
	v_fma_f32 v133, -0.5, v20, v7
	v_sub_f32_e32 v20, v89, v126
	v_add_f32_e32 v5, v7, v88
	v_fmac_f32_e32 v21, 0x3e9e377a, v26
	v_fmac_f32_e32 v6, 0x3e9e377a, v26
	v_sub_f32_e32 v26, v114, v123
	v_fmamk_f32 v27, v20, 0xbf737871, v133
	v_fmac_f32_e32 v133, 0x3f737871, v20
	v_add_f32_e32 v5, v5, v33
	v_add_f32_e32 v2, v2, v126
	v_fmac_f32_e32 v27, 0xbf167918, v26
	v_fmac_f32_e32 v133, 0x3f167918, v26
	v_add_f32_e32 v5, v5, v117
	v_fmac_f32_e32 v27, 0x3e9e377a, v28
	v_fmac_f32_e32 v133, 0x3e9e377a, v28
	v_add_f32_e32 v28, v88, v119
	v_add_f32_e32 v5, v5, v119
	v_fmac_f32_e32 v7, -0.5, v28
	v_sub_f32_e32 v28, v33, v88
	v_sub_f32_e32 v33, v22, v32
	v_fmamk_f32 v29, v26, 0x3f737871, v7
	v_fmac_f32_e32 v7, 0xbf737871, v26
	v_add_f32_e32 v28, v28, v30
	v_add_f32_e32 v26, v32, v24
	;; [unrolled: 1-line block ×3, first 2 shown]
	v_fmac_f32_e32 v29, 0xbf167918, v20
	v_fmac_f32_e32 v7, 0x3f167918, v20
	v_add_f32_e32 v20, v3, v22
	v_fma_f32 v26, -0.5, v26, v3
	v_sub_f32_e32 v34, v32, v22
	v_fmac_f32_e32 v29, 0x3e9e377a, v28
	v_fmac_f32_e32 v7, 0x3e9e377a, v28
	v_sub_f32_e32 v28, v15, v25
	v_add_f32_e32 v20, v20, v32
	v_add_f32_e32 v34, v34, v35
	v_fmamk_f32 v30, v28, 0x3f737871, v26
	v_fmac_f32_e32 v26, 0xbf737871, v28
	v_add_f32_e32 v20, v20, v24
	v_sub_f32_e32 v24, v32, v24
	v_sub_f32_e32 v32, v15, v23
	v_fmac_f32_e32 v30, 0x3f167918, v31
	v_fmac_f32_e32 v26, 0xbf167918, v31
	v_add_f32_e32 v20, v20, v116
	v_fmac_f32_e32 v30, 0x3e9e377a, v33
	v_fmac_f32_e32 v26, 0x3e9e377a, v33
	v_add_f32_e32 v33, v22, v116
	v_sub_f32_e32 v22, v22, v116
	v_add_f32_e32 v48, v2, v20
	v_mul_f32_e32 v116, 0xbf167918, v30
	v_fmac_f32_e32 v3, -0.5, v33
	v_fmamk_f32 v33, v31, 0xbf737871, v3
	v_fmac_f32_e32 v3, 0x3f737871, v31
	v_fmac_f32_e32 v33, 0x3f167918, v28
	;; [unrolled: 1-line block ×3, first 2 shown]
	v_add_f32_e32 v28, v14, v15
	v_fmac_f32_e32 v33, 0x3e9e377a, v34
	v_fmac_f32_e32 v3, 0x3e9e377a, v34
	v_add_f32_e32 v28, v28, v23
	v_sub_f32_e32 v34, v25, v16
	v_mul_f32_e32 v117, 0xbf737871, v33
	v_add_f32_e32 v28, v28, v16
	v_add_f32_e32 v32, v32, v34
	v_add_f32_e32 v31, v28, v25
	v_add_f32_e32 v28, v23, v16
	v_sub_f32_e32 v16, v16, v25
	v_add_f32_e32 v49, v5, v31
	v_fma_f32 v28, -0.5, v28, v14
	v_sub_f32_e32 v31, v5, v31
	v_sub_f32_e32 v5, v128, v131
	v_fmamk_f32 v35, v22, 0xbf737871, v28
	v_fmac_f32_e32 v28, 0x3f737871, v22
	v_fmac_f32_e32 v35, 0xbf167918, v24
	;; [unrolled: 1-line block ×5, first 2 shown]
	v_add_f32_e32 v32, v15, v25
	v_sub_f32_e32 v15, v23, v15
	v_mul_f32_e32 v23, 0xbf4f1bbd, v26
	v_fmac_f32_e32 v116, 0x3f4f1bbd, v35
	v_fmac_f32_e32 v14, -0.5, v32
	v_add_f32_e32 v15, v15, v16
	v_fmac_f32_e32 v23, 0x3f167918, v28
	v_add_f32_e32 v89, v27, v116
	v_sub_f32_e32 v27, v27, v116
	v_fmamk_f32 v114, v24, 0x3f737871, v14
	v_fmac_f32_e32 v14, 0xbf737871, v24
	v_add_f32_e32 v24, v4, v23
	v_fmac_f32_e32 v114, 0xbf167918, v22
	v_fmac_f32_e32 v14, 0x3f167918, v22
	v_mul_f32_e32 v22, 0xbe9e377a, v3
	v_fmac_f32_e32 v114, 0x3e9e377a, v15
	v_fmac_f32_e32 v14, 0x3e9e377a, v15
	v_mul_f32_e32 v15, 0x3f167918, v35
	v_mul_f32_e32 v16, 0x3f737871, v114
	v_fmac_f32_e32 v22, 0x3f737871, v14
	v_mul_f32_e32 v14, 0xbe9e377a, v14
	v_fmac_f32_e32 v15, 0x3f4f1bbd, v30
	v_sub_f32_e32 v30, v2, v20
	v_fmac_f32_e32 v16, 0x3e9e377a, v33
	v_add_f32_e32 v34, v6, v22
	v_fmac_f32_e32 v14, 0xbf737871, v3
	v_mul_f32_e32 v3, 0xbf4f1bbd, v28
	v_sub_f32_e32 v20, v6, v22
	v_sub_f32_e32 v22, v4, v23
	;; [unrolled: 1-line block ×3, first 2 shown]
	v_add_f32_e32 v88, v11, v15
	v_fmac_f32_e32 v3, 0xbf167918, v26
	v_add_f32_e32 v32, v21, v16
	v_add_f32_e32 v35, v7, v14
	v_sub_f32_e32 v26, v11, v15
	v_sub_f32_e32 v28, v21, v16
	v_add_f32_e32 v25, v133, v3
	v_sub_f32_e32 v23, v133, v3
	v_add_f32_e32 v3, v130, v132
	v_sub_f32_e32 v21, v7, v14
	v_sub_f32_e32 v7, v127, v130
	;; [unrolled: 1-line block ×3, first 2 shown]
	v_add_f32_e32 v2, v0, v127
	v_fma_f32 v3, -0.5, v3, v0
	v_sub_f32_e32 v14, v132, v19
	v_fmac_f32_e32 v117, 0x3e9e377a, v114
	v_add_f32_e32 v7, v7, v11
	v_sub_f32_e32 v11, v130, v127
	v_fmamk_f32 v6, v4, 0x3f737871, v3
	v_fmac_f32_e32 v3, 0xbf737871, v4
	v_sub_f32_e32 v15, v12, v131
	v_add_f32_e32 v33, v29, v117
	v_add_f32_e32 v11, v11, v14
	v_fmac_f32_e32 v6, 0x3f167918, v5
	v_fmac_f32_e32 v3, 0xbf167918, v5
	v_sub_f32_e32 v14, v124, v128
	v_sub_f32_e32 v29, v29, v117
	;; [unrolled: 1-line block ×3, first 2 shown]
	v_fmac_f32_e32 v6, 0x3e9e377a, v7
	v_fmac_f32_e32 v3, 0x3e9e377a, v7
	v_add_f32_e32 v7, v127, v19
	v_add_f32_e32 v14, v14, v15
	;; [unrolled: 1-line block ×3, first 2 shown]
	v_fma_f32 v0, -0.5, v7, v0
	v_add_f32_e32 v2, v2, v132
	v_fmamk_f32 v7, v5, 0xbf737871, v0
	v_fmac_f32_e32 v0, 0x3f737871, v5
	v_sub_f32_e32 v5, v130, v132
	v_add_f32_e32 v2, v2, v19
	v_fmac_f32_e32 v7, 0x3f167918, v4
	v_fmac_f32_e32 v0, 0xbf167918, v4
	v_add_f32_e32 v4, v1, v124
	v_fmac_f32_e32 v7, 0x3e9e377a, v11
	v_fmac_f32_e32 v0, 0x3e9e377a, v11
	v_add_f32_e32 v4, v4, v128
	v_add_f32_e32 v4, v4, v131
	;; [unrolled: 1-line block ×4, first 2 shown]
	v_fma_f32 v114, -0.5, v4, v1
	v_sub_f32_e32 v4, v127, v19
	v_fmamk_f32 v116, v4, 0xbf737871, v114
	v_fmac_f32_e32 v114, 0x3f737871, v4
	v_fmac_f32_e32 v116, 0xbf167918, v5
	;; [unrolled: 1-line block ×5, first 2 shown]
	v_add_f32_e32 v14, v124, v12
	v_sub_f32_e32 v12, v131, v12
	v_fmac_f32_e32 v1, -0.5, v14
	v_sub_f32_e32 v14, v128, v124
	v_fmamk_f32 v117, v5, 0x3f737871, v1
	v_fmac_f32_e32 v1, 0xbf737871, v5
	v_add_f32_e32 v12, v14, v12
	v_sub_f32_e32 v14, v115, v125
	v_fmac_f32_e32 v117, 0xbf167918, v4
	v_fmac_f32_e32 v1, 0x3f167918, v4
	v_add_f32_e32 v4, v8, v115
	v_add_f32_e32 v14, v14, v16
	v_sub_f32_e32 v16, v129, v13
	v_fmac_f32_e32 v117, 0x3e9e377a, v12
	v_fmac_f32_e32 v1, 0x3e9e377a, v12
	v_add_f32_e32 v4, v4, v125
	v_sub_f32_e32 v12, v118, v18
	v_add_f32_e32 v4, v4, v129
	v_add_f32_e32 v119, v4, v13
	v_add_f32_e32 v4, v125, v129
	v_fma_f32 v5, -0.5, v4, v8
	v_sub_f32_e32 v4, v17, v10
	v_fmamk_f32 v15, v4, 0x3f737871, v5
	v_fmac_f32_e32 v5, 0xbf737871, v4
	v_fmac_f32_e32 v15, 0x3f167918, v12
	;; [unrolled: 1-line block ×5, first 2 shown]
	v_add_f32_e32 v14, v115, v13
	v_mul_f32_e32 v128, 0xbf4f1bbd, v5
	v_fmac_f32_e32 v8, -0.5, v14
	v_sub_f32_e32 v14, v125, v115
	v_fmamk_f32 v123, v12, 0xbf737871, v8
	v_fmac_f32_e32 v8, 0x3f737871, v12
	v_add_f32_e32 v14, v14, v16
	v_sub_f32_e32 v12, v125, v129
	v_sub_f32_e32 v16, v10, v18
	v_fmac_f32_e32 v123, 0x3f167918, v4
	v_fmac_f32_e32 v8, 0xbf167918, v4
	v_add_f32_e32 v4, v9, v17
	v_mul_f32_e32 v129, 0xbf167918, v15
	v_fmac_f32_e32 v123, 0x3e9e377a, v14
	v_fmac_f32_e32 v8, 0x3e9e377a, v14
	v_add_f32_e32 v4, v4, v118
	v_sub_f32_e32 v14, v17, v118
	v_mul_f32_e32 v127, 0xbe9e377a, v8
	v_add_f32_e32 v4, v4, v18
	v_add_f32_e32 v14, v14, v16
	;; [unrolled: 1-line block ×5, first 2 shown]
	v_fma_f32 v126, -0.5, v4, v9
	v_sub_f32_e32 v4, v115, v13
	v_fmamk_f32 v13, v4, 0xbf737871, v126
	v_fmac_f32_e32 v126, 0x3f737871, v4
	v_fmac_f32_e32 v13, 0xbf167918, v12
	;; [unrolled: 1-line block ×5, first 2 shown]
	v_add_f32_e32 v14, v17, v10
	v_sub_f32_e32 v10, v18, v10
	v_fmac_f32_e32 v129, 0x3f4f1bbd, v13
	v_fmac_f32_e32 v128, 0x3f167918, v126
	v_fmac_f32_e32 v9, -0.5, v14
	v_sub_f32_e32 v14, v118, v17
	v_mul_f32_e32 v126, 0xbf4f1bbd, v126
	v_mul_f32_e32 v118, 0x3f167918, v13
	v_add_f32_e32 v17, v11, v124
	v_fmamk_f32 v115, v12, 0x3f737871, v9
	v_fmac_f32_e32 v9, 0xbf737871, v12
	v_add_f32_e32 v10, v14, v10
	v_fmac_f32_e32 v126, 0xbf167918, v5
	v_fmac_f32_e32 v118, 0x3f4f1bbd, v15
	;; [unrolled: 1-line block ×4, first 2 shown]
	v_add_f32_e32 v4, v3, v128
	v_add_f32_e32 v5, v114, v126
	;; [unrolled: 1-line block ×3, first 2 shown]
	v_fmac_f32_e32 v115, 0x3e9e377a, v10
	v_fmac_f32_e32 v9, 0x3e9e377a, v10
	v_sub_f32_e32 v10, v2, v119
	v_sub_f32_e32 v2, v3, v128
	;; [unrolled: 1-line block ×3, first 2 shown]
	v_mov_b32_e32 v114, 0x64
	v_mul_f32_e32 v125, 0x3f737871, v115
	v_fmac_f32_e32 v127, 0x3f737871, v9
	v_add_f32_e32 v19, v116, v129
	v_sub_f32_e32 v11, v11, v124
	v_mul_u32_u24_sdwa v113, v113, v114 dst_sel:DWORD dst_unused:UNUSED_PAD src0_sel:WORD_0 src1_sel:DWORD
	v_fmac_f32_e32 v125, 0x3e9e377a, v123
	v_mul_f32_e32 v123, 0xbf737871, v123
	v_add_f32_e32 v14, v0, v127
	v_sub_f32_e32 v6, v6, v118
	v_add_lshl_u32 v246, v113, v112, 3
	ds_write2_b64 v246, v[104:105], v[106:107] offset1:10
	ds_write2_b64 v246, v[90:91], v[92:93] offset0:20 offset1:30
	ds_write2_b64 v246, v[50:51], v[102:103] offset0:40 offset1:50
	;; [unrolled: 1-line block ×4, first 2 shown]
	v_mul_u32_u24_sdwa v50, v111, v114 dst_sel:DWORD dst_unused:UNUSED_PAD src0_sel:WORD_0 src1_sel:DWORD
	v_fmac_f32_e32 v123, 0x3e9e377a, v115
	v_mul_f32_e32 v115, 0xbe9e377a, v9
	v_add_f32_e32 v12, v7, v125
	v_sub_f32_e32 v0, v0, v127
	v_add_lshl_u32 v247, v50, v110, 3
	ds_write2_b64 v247, v[48:49], v[88:89] offset1:10
	ds_write2_b64 v247, v[32:33], v[34:35] offset0:20 offset1:30
	ds_write2_b64 v247, v[24:25], v[30:31] offset0:40 offset1:50
	;; [unrolled: 1-line block ×4, first 2 shown]
	v_mad_u16 v20, 0x64, v108, v109
	v_fmac_f32_e32 v115, 0xbf737871, v8
	v_add_f32_e32 v13, v117, v123
	v_sub_f32_e32 v8, v7, v125
	v_sub_f32_e32 v7, v116, v129
	v_lshlrev_b32_sdwa v251, v149, v20 dst_sel:DWORD dst_unused:UNUSED_PAD src0_sel:DWORD src1_sel:WORD_0
	v_add_f32_e32 v15, v1, v115
	v_sub_f32_e32 v9, v117, v123
	v_sub_f32_e32 v1, v1, v115
	ds_write2_b64 v251, v[16:17], v[18:19] offset1:10
	ds_write2_b64 v251, v[12:13], v[14:15] offset0:20 offset1:30
	ds_write2_b64 v251, v[4:5], v[10:11] offset0:40 offset1:50
	;; [unrolled: 1-line block ×4, first 2 shown]
	v_add_nc_u32_e32 v0, 0xffffff9c, v134
	v_mov_b32_e32 v2, v134
	s_waitcnt lgkmcnt(0)
	s_barrier
	buffer_gl0_inv
	v_cndmask_b32_e32 v156, v0, v134, vcc_lo
	ds_read2_b64 v[96:99], v83 offset1:120
	ds_read2_b64 v[88:91], v135 offset0:96 offset1:216
	ds_read2_b64 v[8:11], v136 offset0:48 offset1:168
	;; [unrolled: 1-line block ×14, first 2 shown]
	v_mul_i32_i24_e32 v1, 40, v156
	v_mul_hi_i32_i24_e32 v0, 40, v156
	buffer_store_dword v2, off, s[20:23], 0 offset:212 ; 4-byte Folded Spill
	v_mov_b32_e32 v5, v141
	v_add_co_u32 v3, vcc_lo, s10, v1
	v_add_co_ci_u32_e32 v4, vcc_lo, s11, v0, vcc_lo
	s_clause 0x2
	global_load_dwordx2 v[242:243], v[3:4], off offset:752
	global_load_dwordx4 v[212:215], v[3:4], off offset:736
	global_load_dwordx4 v[208:211], v[3:4], off offset:720
	v_mov_b32_e32 v3, 0x147b
	v_cmp_lt_u16_e32 vcc_lo, 0x63, v148
	v_mov_b32_e32 v6, v5
	v_add_nc_u32_e32 v4, 0x4c00, v83
	s_waitcnt vmcnt(1) lgkmcnt(11)
	v_mul_f32_e32 v124, v114, v213
	s_waitcnt vmcnt(0)
	v_mul_f32_e32 v0, v91, v209
	v_mul_f32_e32 v126, v8, v211
	s_waitcnt lgkmcnt(10)
	v_mul_f32_e32 v127, v12, v215
	v_fmac_f32_e32 v124, v115, v212
	v_fma_f32 v123, v90, v208, -v0
	v_mul_f32_e32 v0, v9, v211
	v_mul_f32_e32 v90, v90, v209
	v_fmac_f32_e32 v126, v9, v210
	v_fmac_f32_e32 v127, v13, v214
	v_fma_f32 v125, v8, v210, -v0
	v_mul_f32_e32 v0, v115, v213
	v_fmac_f32_e32 v90, v91, v208
	v_fma_f32 v91, v114, v212, -v0
	v_mul_f32_e32 v0, v13, v215
	v_fma_f32 v115, v12, v214, -v0
	s_waitcnt lgkmcnt(9)
	v_mul_f32_e32 v0, v107, v243
	v_fma_f32 v114, v106, v242, -v0
	v_mul_lo_u16 v0, v122, 41
	v_mul_f32_e32 v106, v106, v243
	v_lshrrev_b16 v157, 12, v0
	v_fmac_f32_e32 v106, v107, v242
	v_mul_lo_u16 v0, 0x64, v157
	v_sub_nc_u16 v0, v120, v0
	v_and_b32_e32 v158, 0xff, v0
	v_mad_u64_u32 v[8:9], null, v158, 40, s[10:11]
	s_clause 0x2
	global_load_dwordx2 v[240:241], v[8:9], off offset:752
	global_load_dwordx4 v[20:23], v[8:9], off offset:736
	global_load_dwordx4 v[28:31], v[8:9], off offset:720
	s_waitcnt vmcnt(2) lgkmcnt(6)
	v_mul_f32_e32 v132, v135, v241
	s_waitcnt vmcnt(1)
	v_mul_f32_e32 v134, v14, v23
	s_waitcnt vmcnt(0)
	v_mul_f32_e32 v0, v17, v29
	v_mul_f32_e32 v130, v10, v31
	;; [unrolled: 1-line block ×4, first 2 shown]
	v_fmac_f32_e32 v134, v15, v22
	v_fma_f32 v107, v16, v28, -v0
	v_mul_f32_e32 v0, v11, v31
	v_fmac_f32_e32 v130, v11, v30
	v_fmac_f32_e32 v128, v25, v20
	;; [unrolled: 1-line block ×4, first 2 shown]
	v_fma_f32 v129, v10, v30, -v0
	v_mul_f32_e32 v0, v25, v21
	v_fma_f32 v122, v24, v20, -v0
	v_mul_f32_e32 v0, v15, v23
	;; [unrolled: 2-line block ×3, first 2 shown]
	v_fma_f32 v131, v135, v240, -v0
	v_lshrrev_b16 v0, 2, v121
	v_mul_u32_u24_sdwa v0, v0, v3 dst_sel:DWORD dst_unused:UNUSED_PAD src0_sel:WORD_0 src1_sel:DWORD
	v_lshrrev_b32_e32 v150, 17, v0
	v_mul_lo_u16 v0, 0x64, v150
	v_sub_nc_u16 v153, v121, v0
	v_mul_lo_u16 v0, v153, 40
	v_and_b32_e32 v0, 0xffff, v0
	v_add_co_u32 v12, s4, s10, v0
	v_add_co_ci_u32_e64 v13, null, s11, 0, s4
	s_clause 0x2
	global_load_dwordx2 v[236:237], v[12:13], off offset:752
	global_load_dwordx4 v[8:11], v[12:13], off offset:736
	global_load_dwordx4 v[12:15], v[12:13], off offset:720
	s_waitcnt vmcnt(2)
	v_mul_f32_e32 v165, v137, v237
	s_waitcnt vmcnt(1)
	v_mul_f32_e32 v163, v26, v9
	;; [unrolled: 2-line block ×3, first 2 shown]
	v_mul_f32_e32 v160, v18, v13
	s_waitcnt lgkmcnt(3)
	v_mul_f32_e32 v167, v32, v11
	v_mul_f32_e32 v161, v48, v15
	v_fmac_f32_e32 v163, v27, v8
	v_fma_f32 v159, v18, v12, -v0
	v_mul_f32_e32 v0, v49, v15
	v_fmac_f32_e32 v160, v19, v12
	v_fmac_f32_e32 v161, v49, v14
	;; [unrolled: 1-line block ×4, first 2 shown]
	v_fma_f32 v121, v48, v14, -v0
	v_mul_f32_e32 v0, v27, v9
	v_fma_f32 v162, v26, v8, -v0
	v_mul_f32_e32 v0, v33, v11
	;; [unrolled: 2-line block ×3, first 2 shown]
	v_fma_f32 v164, v137, v236, -v0
	v_add_nc_u16 v0, v148, 0x168
	v_lshrrev_b16 v16, 2, v0
	v_mul_u32_u24_sdwa v16, v16, v3 dst_sel:DWORD dst_unused:UNUSED_PAD src0_sel:WORD_0 src1_sel:DWORD
	v_lshrrev_b32_e32 v151, 17, v16
	v_mul_lo_u16 v16, 0x64, v151
	v_sub_nc_u16 v152, v0, v16
	v_mul_lo_u16 v0, v152, 40
	v_and_b32_e32 v0, 0xffff, v0
	v_add_co_u32 v24, s4, s10, v0
	v_add_co_ci_u32_e64 v25, null, s11, 0, s4
	s_clause 0x2
	global_load_dwordx2 v[232:233], v[24:25], off offset:752
	global_load_dwordx4 v[16:19], v[24:25], off offset:736
	global_load_dwordx4 v[24:27], v[24:25], off offset:720
	s_waitcnt vmcnt(1)
	v_mul_f32_e32 v174, v34, v19
	s_waitcnt vmcnt(0) lgkmcnt(2)
	v_mul_f32_e32 v0, v117, v25
	v_mul_f32_e32 v172, v50, v27
	;; [unrolled: 1-line block ×3, first 2 shown]
	v_fmac_f32_e32 v174, v35, v18
	v_fma_f32 v168, v116, v24, -v0
	v_mul_f32_e32 v0, v51, v27
	v_fmac_f32_e32 v172, v51, v26
	v_fmac_f32_e32 v169, v117, v24
	v_fma_f32 v171, v50, v26, -v0
	s_waitcnt lgkmcnt(1)
	v_mul_f32_e32 v0, v109, v17
	v_fma_f32 v170, v108, v16, -v0
	v_mul_f32_e32 v0, v35, v19
	v_mul_f32_e32 v108, v108, v17
	v_fma_f32 v173, v34, v18, -v0
	s_waitcnt lgkmcnt(0)
	v_mul_f32_e32 v0, v101, v233
	v_fmac_f32_e32 v108, v109, v16
	v_fma_f32 v109, v100, v232, -v0
	v_add_nc_u16 v0, v148, 0x1e0
	v_mul_f32_e32 v100, v100, v233
	v_lshrrev_b16 v32, 2, v0
	v_fmac_f32_e32 v100, v101, v232
	v_mul_u32_u24_sdwa v3, v32, v3 dst_sel:DWORD dst_unused:UNUSED_PAD src0_sel:WORD_0 src1_sel:DWORD
	v_lshrrev_b32_e32 v154, 17, v3
	v_mul_lo_u16 v3, 0x64, v154
	v_sub_nc_u16 v155, v0, v3
	v_mul_lo_u16 v0, v155, 40
	v_and_b32_e32 v0, 0xffff, v0
	v_add_co_u32 v48, s4, s10, v0
	v_add_co_ci_u32_e64 v49, null, s11, 0, s4
	s_clause 0x2
	global_load_dwordx2 v[230:231], v[48:49], off offset:752
	global_load_dwordx4 v[32:35], v[48:49], off offset:736
	global_load_dwordx4 v[48:51], v[48:49], off offset:720
	s_waitcnt vmcnt(0)
	s_waitcnt_vscnt null, 0x0
	s_barrier
	buffer_gl0_inv
	v_mul_f32_e32 v182, v102, v231
	v_mul_f32_e32 v180, v104, v35
	;; [unrolled: 1-line block ×5, first 2 shown]
	v_fmac_f32_e32 v182, v103, v230
	v_fmac_f32_e32 v180, v105, v34
	v_fma_f32 v175, v112, v50, -v101
	v_mul_f32_e32 v101, v111, v33
	v_fmac_f32_e32 v178, v111, v32
	v_mul_f32_e32 v0, v119, v49
	v_mul_f32_e32 v3, v118, v49
	v_fmac_f32_e32 v176, v113, v50
	v_fma_f32 v177, v110, v32, -v101
	v_mul_f32_e32 v101, v105, v35
	v_add_f32_e32 v110, v91, v114
	v_fma_f32 v0, v118, v48, -v0
	v_fmac_f32_e32 v3, v119, v48
	v_fma_f32 v179, v104, v34, -v101
	v_mul_f32_e32 v101, v103, v231
	v_add_f32_e32 v104, v126, v127
	v_fma_f32 v181, v102, v230, -v101
	v_add_f32_e32 v102, v125, v115
	v_add_f32_e32 v101, v96, v125
	v_fma_f32 v96, -0.5, v102, v96
	v_sub_f32_e32 v102, v126, v127
	v_add_f32_e32 v101, v101, v115
	v_fmamk_f32 v103, v102, 0x3f5db3d7, v96
	v_fmac_f32_e32 v96, 0xbf5db3d7, v102
	v_add_f32_e32 v102, v97, v126
	v_fma_f32 v97, -0.5, v104, v97
	v_sub_f32_e32 v104, v125, v115
	v_add_f32_e32 v102, v102, v127
	v_fmamk_f32 v105, v104, 0xbf5db3d7, v97
	v_fmac_f32_e32 v97, 0x3f5db3d7, v104
	v_add_f32_e32 v104, v123, v91
	v_fmac_f32_e32 v123, -0.5, v110
	v_sub_f32_e32 v110, v124, v106
	v_sub_f32_e32 v91, v91, v114
	v_add_f32_e32 v104, v104, v114
	v_fmamk_f32 v111, v110, 0x3f5db3d7, v123
	v_fmac_f32_e32 v123, 0xbf5db3d7, v110
	v_add_f32_e32 v110, v90, v124
	v_add_f32_e32 v144, v101, v104
	v_sub_f32_e32 v142, v101, v104
	v_add_f32_e32 v104, v128, v132
	v_mul_f32_e32 v112, -0.5, v123
	v_add_f32_e32 v110, v110, v106
	v_add_f32_e32 v106, v124, v106
	;; [unrolled: 1-line block ×3, first 2 shown]
	v_fmac_f32_e32 v90, -0.5, v106
	v_sub_f32_e32 v143, v102, v110
	v_add_f32_e32 v102, v122, v131
	v_fmamk_f32 v106, v91, 0xbf5db3d7, v90
	v_fmac_f32_e32 v90, 0x3f5db3d7, v91
	v_mul_f32_e32 v91, 0x3f5db3d7, v106
	v_fmac_f32_e32 v112, 0x3f5db3d7, v90
	v_mul_f32_e32 v90, -0.5, v90
	v_fmac_f32_e32 v91, 0.5, v111
	v_add_f32_e32 v140, v96, v112
	v_fmac_f32_e32 v90, 0xbf5db3d7, v123
	v_sub_f32_e32 v138, v96, v112
	v_sub_f32_e32 v96, v130, v134
	v_add_f32_e32 v146, v103, v91
	v_sub_f32_e32 v136, v103, v91
	v_add_f32_e32 v91, v129, v133
	v_add_f32_e32 v141, v97, v90
	v_sub_f32_e32 v139, v97, v90
	v_add_f32_e32 v90, v98, v129
	v_mul_f32_e32 v111, 0xbf5db3d7, v111
	v_fma_f32 v91, -0.5, v91, v98
	v_add_f32_e32 v98, v130, v134
	v_add_f32_e32 v90, v90, v133
	v_fmac_f32_e32 v111, 0.5, v106
	v_fmamk_f32 v97, v96, 0x3f5db3d7, v91
	v_fmac_f32_e32 v91, 0xbf5db3d7, v96
	v_add_f32_e32 v96, v99, v130
	v_fmac_f32_e32 v99, -0.5, v98
	v_sub_f32_e32 v98, v129, v133
	v_add_f32_e32 v147, v105, v111
	v_sub_f32_e32 v137, v105, v111
	v_add_f32_e32 v96, v96, v134
	v_fmamk_f32 v101, v98, 0xbf5db3d7, v99
	v_fmac_f32_e32 v99, 0x3f5db3d7, v98
	v_add_f32_e32 v98, v107, v122
	v_fmac_f32_e32 v107, -0.5, v102
	v_sub_f32_e32 v102, v128, v132
	v_add_f32_e32 v98, v98, v131
	v_fmamk_f32 v103, v102, 0x3f5db3d7, v107
	v_fmac_f32_e32 v107, 0xbf5db3d7, v102
	v_add_f32_e32 v102, v120, v128
	v_fmac_f32_e32 v120, -0.5, v104
	v_sub_f32_e32 v104, v122, v131
	v_sub_f32_e32 v130, v90, v98
	v_mul_f32_e32 v106, -0.5, v107
	v_add_f32_e32 v102, v102, v132
	v_add_f32_e32 v132, v90, v98
	v_fmamk_f32 v105, v104, 0xbf5db3d7, v120
	v_fmac_f32_e32 v120, 0x3f5db3d7, v104
	v_add_f32_e32 v90, v92, v121
	v_add_f32_e32 v133, v96, v102
	v_sub_f32_e32 v131, v96, v102
	v_mul_f32_e32 v104, 0x3f5db3d7, v105
	v_fmac_f32_e32 v106, 0x3f5db3d7, v120
	v_add_f32_e32 v102, v163, v165
	v_add_f32_e32 v90, v90, v166
	v_fmac_f32_e32 v104, 0.5, v103
	v_mul_f32_e32 v103, 0xbf5db3d7, v103
	v_add_f32_e32 v128, v91, v106
	v_sub_f32_e32 v126, v91, v106
	v_add_f32_e32 v91, v121, v166
	v_add_f32_e32 v134, v97, v104
	v_fmac_f32_e32 v103, 0.5, v105
	v_mul_f32_e32 v105, -0.5, v120
	v_sub_f32_e32 v124, v97, v104
	v_fma_f32 v91, -0.5, v91, v92
	v_sub_f32_e32 v92, v161, v167
	v_add_f32_e32 v97, v161, v167
	v_fmac_f32_e32 v105, 0xbf5db3d7, v107
	v_add_f32_e32 v135, v101, v103
	v_sub_f32_e32 v125, v101, v103
	v_fmamk_f32 v96, v92, 0x3f5db3d7, v91
	v_fmac_f32_e32 v91, 0xbf5db3d7, v92
	v_add_f32_e32 v129, v99, v105
	v_sub_f32_e32 v127, v99, v105
	v_add_f32_e32 v92, v93, v161
	v_fma_f32 v93, -0.5, v97, v93
	v_sub_f32_e32 v97, v121, v166
	v_add_f32_e32 v99, v162, v164
	v_add_f32_e32 v92, v92, v167
	v_fmamk_f32 v98, v97, 0xbf5db3d7, v93
	v_fmac_f32_e32 v93, 0x3f5db3d7, v97
	v_add_f32_e32 v97, v159, v162
	v_fmac_f32_e32 v159, -0.5, v99
	v_sub_f32_e32 v99, v163, v165
	v_add_f32_e32 v97, v97, v164
	v_fmamk_f32 v101, v99, 0x3f5db3d7, v159
	v_fmac_f32_e32 v159, 0xbf5db3d7, v99
	v_add_f32_e32 v99, v160, v163
	v_fmac_f32_e32 v160, -0.5, v102
	v_sub_f32_e32 v102, v162, v164
	v_add_f32_e32 v120, v90, v97
	v_mul_f32_e32 v104, -0.5, v159
	v_add_f32_e32 v99, v99, v165
	v_sub_f32_e32 v118, v90, v97
	v_fmamk_f32 v103, v102, 0xbf5db3d7, v160
	v_fmac_f32_e32 v160, 0x3f5db3d7, v102
	v_add_f32_e32 v90, v94, v171
	v_add_f32_e32 v121, v92, v99
	v_sub_f32_e32 v119, v92, v99
	v_mul_f32_e32 v102, 0x3f5db3d7, v103
	v_fmac_f32_e32 v104, 0x3f5db3d7, v160
	v_sub_f32_e32 v92, v172, v174
	v_add_f32_e32 v97, v170, v109
	v_add_f32_e32 v99, v108, v100
	v_fmac_f32_e32 v102, 0.5, v101
	v_mul_f32_e32 v101, 0xbf5db3d7, v101
	v_add_f32_e32 v116, v91, v104
	v_sub_f32_e32 v114, v91, v104
	v_add_f32_e32 v91, v171, v173
	v_add_f32_e32 v122, v96, v102
	v_fmac_f32_e32 v101, 0.5, v103
	v_mul_f32_e32 v103, -0.5, v160
	v_sub_f32_e32 v112, v96, v102
	v_fma_f32 v91, -0.5, v91, v94
	v_add_f32_e32 v94, v172, v174
	v_add_f32_e32 v123, v98, v101
	v_fmac_f32_e32 v103, 0xbf5db3d7, v159
	v_sub_f32_e32 v113, v98, v101
	v_add_f32_e32 v90, v90, v173
	v_add_f32_e32 v117, v93, v103
	v_sub_f32_e32 v115, v93, v103
	v_fmamk_f32 v93, v92, 0x3f5db3d7, v91
	v_fmac_f32_e32 v91, 0xbf5db3d7, v92
	v_add_f32_e32 v92, v95, v172
	v_fmac_f32_e32 v95, -0.5, v94
	v_sub_f32_e32 v94, v171, v173
	v_add_f32_e32 v92, v92, v174
	v_fmamk_f32 v96, v94, 0xbf5db3d7, v95
	v_fmac_f32_e32 v95, 0x3f5db3d7, v94
	v_add_f32_e32 v94, v168, v170
	v_fmac_f32_e32 v168, -0.5, v97
	v_sub_f32_e32 v97, v108, v100
	v_add_f32_e32 v94, v94, v109
	v_fmamk_f32 v98, v97, 0x3f5db3d7, v168
	v_fmac_f32_e32 v168, 0xbf5db3d7, v97
	v_add_f32_e32 v97, v169, v108
	v_fmac_f32_e32 v169, -0.5, v99
	v_sub_f32_e32 v99, v170, v109
	v_add_f32_e32 v108, v90, v94
	v_mul_f32_e32 v101, -0.5, v168
	v_add_f32_e32 v97, v97, v100
	v_sub_f32_e32 v106, v90, v94
	v_fmamk_f32 v100, v99, 0xbf5db3d7, v169
	v_fmac_f32_e32 v169, 0x3f5db3d7, v99
	v_add_f32_e32 v90, v88, v175
	v_add_f32_e32 v109, v92, v97
	v_sub_f32_e32 v107, v92, v97
	v_add_f32_e32 v92, v176, v180
	v_fmac_f32_e32 v101, 0x3f5db3d7, v169
	v_mul_f32_e32 v103, -0.5, v169
	v_mul_f32_e32 v99, 0x3f5db3d7, v100
	v_add_f32_e32 v90, v90, v179
	v_add_f32_e32 v104, v91, v101
	v_sub_f32_e32 v102, v91, v101
	v_add_f32_e32 v91, v175, v179
	v_fmac_f32_e32 v103, 0xbf5db3d7, v168
	v_fmac_f32_e32 v99, 0.5, v98
	v_mul_f32_e32 v98, 0xbf5db3d7, v98
	v_fma_f32 v88, -0.5, v91, v88
	v_sub_f32_e32 v91, v176, v180
	v_add_f32_e32 v105, v95, v103
	v_sub_f32_e32 v103, v95, v103
	v_add_f32_e32 v110, v93, v99
	v_fmac_f32_e32 v98, 0.5, v100
	v_fmamk_f32 v95, v91, 0x3f5db3d7, v88
	v_fmac_f32_e32 v88, 0xbf5db3d7, v91
	v_add_f32_e32 v91, v89, v176
	v_fmac_f32_e32 v89, -0.5, v92
	v_sub_f32_e32 v92, v175, v179
	v_sub_f32_e32 v100, v93, v99
	v_add_f32_e32 v111, v96, v98
	v_sub_f32_e32 v101, v96, v98
	v_add_f32_e32 v91, v91, v180
	v_fmamk_f32 v159, v92, 0xbf5db3d7, v89
	v_fmac_f32_e32 v89, 0x3f5db3d7, v92
	v_add_f32_e32 v92, v0, v177
	v_add_f32_e32 v94, v92, v181
	;; [unrolled: 1-line block ×4, first 2 shown]
	v_fmac_f32_e32 v0, -0.5, v92
	v_sub_f32_e32 v92, v178, v182
	v_sub_f32_e32 v94, v90, v94
	v_fmamk_f32 v93, v92, 0x3f5db3d7, v0
	v_fmac_f32_e32 v0, 0xbf5db3d7, v92
	v_add_f32_e32 v92, v3, v178
	v_mul_f32_e32 v163, 0xbf5db3d7, v93
	v_mul_f32_e32 v162, -0.5, v0
	v_add_f32_e32 v160, v92, v182
	v_add_f32_e32 v92, v178, v182
	;; [unrolled: 1-line block ×3, first 2 shown]
	v_fmac_f32_e32 v3, -0.5, v92
	v_sub_f32_e32 v92, v177, v181
	v_fmamk_f32 v99, v92, 0xbf5db3d7, v3
	v_fmac_f32_e32 v3, 0x3f5db3d7, v92
	v_mul_f32_e32 v161, 0x3f5db3d7, v99
	v_fmac_f32_e32 v162, 0x3f5db3d7, v3
	v_mul_f32_e32 v3, -0.5, v3
	v_fmac_f32_e32 v163, 0.5, v99
	v_fmac_f32_e32 v161, 0.5, v93
	v_add_f32_e32 v92, v88, v162
	v_fmac_f32_e32 v3, 0xbf5db3d7, v0
	v_cndmask_b32_e64 v0, 0, 0x258, vcc_lo
	v_sub_f32_e32 v88, v88, v162
	v_add_f32_e32 v98, v95, v161
	v_sub_f32_e32 v90, v95, v161
	v_add_f32_e32 v93, v89, v3
	v_add_lshl_u32 v0, v156, v0, 3
	v_sub_f32_e32 v95, v91, v160
	v_sub_f32_e32 v91, v159, v163
	;; [unrolled: 1-line block ×3, first 2 shown]
	v_add_f32_e32 v99, v159, v163
	v_add_nc_u32_e32 v1, 0x400, v0
	ds_write2_b64 v0, v[144:145], v[146:147] offset1:100
	buffer_store_dword v0, off, s[20:23], 0 offset:236 ; 4-byte Folded Spill
	buffer_store_dword v1, off, s[20:23], 0 offset:220 ; 4-byte Folded Spill
	ds_write2_b64 v1, v[140:141], v[142:143] offset0:72 offset1:172
	v_add_nc_u32_e32 v1, 0x800, v0
	v_mov_b32_e32 v0, 0x258
	buffer_store_dword v1, off, s[20:23], 0 offset:224 ; 4-byte Folded Spill
	v_mul_u32_u24_sdwa v0, v157, v0 dst_sel:DWORD dst_unused:UNUSED_PAD src0_sel:WORD_0 src1_sel:DWORD
	ds_write2_b64 v1, v[136:137], v[138:139] offset0:144 offset1:244
	v_add_lshl_u32 v0, v0, v158, 3
	v_add_nc_u32_e32 v1, 0x400, v0
	buffer_store_dword v0, off, s[20:23], 0 offset:240 ; 4-byte Folded Spill
	ds_write2_b64 v0, v[132:133], v[134:135] offset1:100
	buffer_store_dword v1, off, s[20:23], 0 offset:232 ; 4-byte Folded Spill
	ds_write2_b64 v1, v[128:129], v[130:131] offset0:72 offset1:172
	v_add_nc_u32_e32 v1, 0x800, v0
	v_mad_u16 v0, 0x258, v150, v153
	buffer_store_dword v1, off, s[20:23], 0 offset:228 ; 4-byte Folded Spill
	v_lshlrev_b32_sdwa v0, v149, v0 dst_sel:DWORD dst_unused:UNUSED_PAD src0_sel:DWORD src1_sel:WORD_0
	ds_write2_b64 v1, v[124:125], v[126:127] offset0:144 offset1:244
	v_mad_u64_u32 v[126:127], null, v2, 40, s[10:11]
	v_add_nc_u32_e32 v2, 0xc00, v83
	v_mov_b32_e32 v1, v0
	ds_write2_b64 v0, v[120:121], v[122:123] offset1:100
	v_add_nc_u32_e32 v0, 0x400, v1
	buffer_store_dword v1, off, s[20:23], 0 offset:260 ; 4-byte Folded Spill
	buffer_store_dword v0, off, s[20:23], 0 offset:248 ; 4-byte Folded Spill
	ds_write2_b64 v0, v[116:117], v[118:119] offset0:72 offset1:172
	v_add_nc_u32_e32 v0, 0x800, v1
	buffer_store_dword v0, off, s[20:23], 0 offset:244 ; 4-byte Folded Spill
	ds_write2_b64 v0, v[112:113], v[114:115] offset0:144 offset1:244
	v_mad_u16 v0, 0x258, v151, v152
	v_lshlrev_b32_sdwa v0, v149, v0 dst_sel:DWORD dst_unused:UNUSED_PAD src0_sel:DWORD src1_sel:WORD_0
	v_mov_b32_e32 v1, v0
	ds_write2_b64 v0, v[108:109], v[110:111] offset1:100
	v_add_nc_u32_e32 v0, 0x400, v1
	buffer_store_dword v1, off, s[20:23], 0 offset:272 ; 4-byte Folded Spill
	buffer_store_dword v0, off, s[20:23], 0 offset:256 ; 4-byte Folded Spill
	ds_write2_b64 v0, v[104:105], v[106:107] offset0:72 offset1:172
	v_add_nc_u32_e32 v0, 0x800, v1
	buffer_store_dword v0, off, s[20:23], 0 offset:252 ; 4-byte Folded Spill
	ds_write2_b64 v0, v[100:101], v[102:103] offset0:144 offset1:244
	v_mad_u16 v0, 0x258, v154, v155
	v_lshlrev_b32_sdwa v0, v149, v0 dst_sel:DWORD dst_unused:UNUSED_PAD src0_sel:DWORD src1_sel:WORD_0
	v_add_nc_u32_e32 v1, 0x400, v0
	ds_write2_b64 v0, v[96:97], v[98:99] offset1:100
	buffer_store_dword v0, off, s[20:23], 0 offset:276 ; 4-byte Folded Spill
	buffer_store_dword v1, off, s[20:23], 0 offset:264 ; 4-byte Folded Spill
	ds_write2_b64 v1, v[92:93], v[94:95] offset0:72 offset1:172
	v_add_nc_u32_e32 v1, 0x800, v0
	ds_write2_b64 v1, v[90:91], v[88:89] offset0:144 offset1:244
	v_add_co_u32 v88, vcc_lo, 0x1270, v126
	v_add_co_ci_u32_e32 v89, vcc_lo, 0, v127, vcc_lo
	v_add_co_u32 v90, vcc_lo, 0x1000, v126
	v_add_co_ci_u32_e32 v91, vcc_lo, 0, v127, vcc_lo
	buffer_store_dword v1, off, s[20:23], 0 offset:268 ; 4-byte Folded Spill
	s_waitcnt lgkmcnt(0)
	s_waitcnt_vscnt null, 0x0
	s_barrier
	buffer_gl0_inv
	ds_read2_b64 v[136:139], v83 offset1:120
	ds_read2_b64 v[128:131], v185 offset0:96 offset1:216
	ds_read2_b64 v[98:101], v184 offset0:48 offset1:168
	;; [unrolled: 1-line block ×5, first 2 shown]
	v_mov_b32_e32 v1, v183
	ds_read2_b64 v[106:109], v183 offset0:80 offset1:200
	ds_read2_b64 v[176:179], v254 offset0:128 offset1:248
	;; [unrolled: 1-line block ×9, first 2 shown]
	s_clause 0x2
	global_load_dwordx4 v[92:95], v[90:91], off offset:624
	global_load_dwordx2 v[218:219], v[88:89], off offset:32
	global_load_dwordx4 v[88:91], v[88:89], off offset:16
	v_add_nc_u32_e32 v5, 0x3c00, v83
	s_waitcnt vmcnt(2) lgkmcnt(13)
	v_mul_f32_e32 v0, v131, v93
	s_waitcnt lgkmcnt(12)
	v_mul_f32_e32 v173, v98, v95
	s_waitcnt vmcnt(0) lgkmcnt(10)
	v_mul_f32_e32 v175, v102, v91
	v_mul_f32_e32 v163, v154, v89
	;; [unrolled: 1-line block ×3, first 2 shown]
	v_fma_f32 v160, v130, v92, -v0
	v_mul_f32_e32 v0, v99, v95
	v_fmac_f32_e32 v175, v103, v90
	v_fmac_f32_e32 v173, v99, v94
	;; [unrolled: 1-line block ×4, first 2 shown]
	v_fma_f32 v172, v98, v94, -v0
	v_mul_f32_e32 v0, v155, v89
	s_waitcnt lgkmcnt(9)
	v_mul_f32_e32 v171, v146, v219
	v_fma_f32 v162, v154, v88, -v0
	v_mul_f32_e32 v0, v103, v91
	v_fmac_f32_e32 v171, v147, v218
	v_fma_f32 v174, v102, v90, -v0
	v_add_co_u32 v102, vcc_lo, 0x2530, v126
	v_add_co_ci_u32_e32 v103, vcc_lo, 0, v127, vcc_lo
	v_add_co_u32 v96, vcc_lo, 0x2000, v126
	v_add_co_ci_u32_e32 v97, vcc_lo, 0, v127, vcc_lo
	s_clause 0x2
	global_load_dwordx4 v[96:99], v[96:97], off offset:1328
	global_load_dwordx2 v[226:227], v[102:103], off offset:32
	global_load_dwordx4 v[112:115], v[102:103], off offset:16
	v_mul_f32_e32 v0, v147, v219
	v_fma_f32 v170, v146, v218, -v0
	s_waitcnt vmcnt(2) lgkmcnt(8)
	v_mul_f32_e32 v0, v107, v97
	v_mul_f32_e32 v155, v100, v99
	;; [unrolled: 1-line block ×3, first 2 shown]
	s_waitcnt vmcnt(0)
	v_mul_f32_e32 v169, v104, v115
	s_waitcnt lgkmcnt(7)
	v_mul_f32_e32 v147, v176, v113
	v_fma_f32 v130, v106, v96, -v0
	v_mul_f32_e32 v0, v101, v99
	v_fmac_f32_e32 v155, v101, v98
	v_fmac_f32_e32 v131, v107, v96
	;; [unrolled: 1-line block ×4, first 2 shown]
	v_fma_f32 v154, v100, v98, -v0
	v_mul_f32_e32 v0, v177, v113
	v_add_co_u32 v100, vcc_lo, 0x37f0, v126
	v_add_co_ci_u32_e32 v101, vcc_lo, 0, v127, vcc_lo
	v_add_co_u32 v102, vcc_lo, 0x3000, v126
	v_fma_f32 v146, v176, v112, -v0
	v_mul_f32_e32 v0, v105, v115
	v_add_co_ci_u32_e32 v103, vcc_lo, 0, v127, vcc_lo
	v_add_co_u32 v116, vcc_lo, 0x4ab0, v126
	v_fma_f32 v168, v104, v114, -v0
	s_clause 0x2
	global_load_dwordx4 v[104:107], v[102:103], off offset:2032
	global_load_dwordx2 v[238:239], v[100:101], off offset:32
	global_load_dwordx4 v[100:103], v[100:101], off offset:16
	s_waitcnt lgkmcnt(6)
	v_mul_f32_e32 v0, v181, v227
	v_add_co_ci_u32_e32 v117, vcc_lo, 0, v127, vcc_lo
	v_mul_f32_e32 v167, v180, v227
	v_fma_f32 v166, v180, v226, -v0
	v_fmac_f32_e32 v167, v181, v226
	s_waitcnt vmcnt(2)
	v_mul_f32_e32 v0, v109, v105
	v_mul_f32_e32 v165, v108, v105
	s_waitcnt vmcnt(0) lgkmcnt(3)
	v_mul_f32_e32 v198, v118, v103
	v_mul_f32_e32 v196, v122, v107
	;; [unrolled: 1-line block ×3, first 2 shown]
	v_fma_f32 v164, v108, v104, -v0
	v_mul_f32_e32 v0, v123, v107
	v_add_co_u32 v108, vcc_lo, 0x4800, v126
	v_fmac_f32_e32 v165, v109, v104
	v_add_co_ci_u32_e32 v109, vcc_lo, 0, v127, vcc_lo
	v_fma_f32 v194, v122, v106, -v0
	v_mul_f32_e32 v0, v179, v101
	v_fmac_f32_e32 v198, v119, v102
	v_fmac_f32_e32 v196, v123, v106
	;; [unrolled: 1-line block ×3, first 2 shown]
	v_mul_f32_e32 v195, v182, v239
	v_fma_f32 v176, v178, v100, -v0
	v_mul_f32_e32 v0, v119, v103
	v_fmac_f32_e32 v195, v183, v238
	v_fma_f32 v197, v118, v102, -v0
	s_clause 0x2
	global_load_dwordx4 v[108:111], v[108:109], off offset:688
	global_load_dwordx2 v[234:235], v[116:117], off offset:32
	global_load_dwordx4 v[116:119], v[116:117], off offset:16
	v_mul_f32_e32 v0, v183, v239
	v_fma_f32 v193, v182, v238, -v0
	s_waitcnt vmcnt(2) lgkmcnt(2)
	v_mul_f32_e32 v0, v157, v109
	v_mul_f32_e32 v203, v124, v111
	s_waitcnt vmcnt(0)
	v_mul_f32_e32 v250, v120, v119
	s_waitcnt lgkmcnt(0)
	v_mul_f32_e32 v206, v140, v235
	v_mul_f32_e32 v200, v156, v109
	v_fma_f32 v199, v156, v108, -v0
	v_mul_f32_e32 v0, v125, v111
	v_fmac_f32_e32 v250, v121, v118
	v_fmac_f32_e32 v203, v125, v110
	;; [unrolled: 1-line block ×4, first 2 shown]
	v_fma_f32 v202, v124, v110, -v0
	v_mul_f32_e32 v0, v149, v117
	v_add_f32_e32 v157, v162, v170
	v_fma_f32 v201, v148, v116, -v0
	v_mul_f32_e32 v0, v121, v119
	v_mul_f32_e32 v148, v148, v117
	v_fma_f32 v207, v120, v118, -v0
	v_add_co_u32 v120, vcc_lo, 0x5d70, v126
	v_add_co_ci_u32_e32 v121, vcc_lo, 0, v127, vcc_lo
	v_add_co_u32 v122, vcc_lo, 0x5800, v126
	v_add_co_ci_u32_e32 v123, vcc_lo, 0, v127, vcc_lo
	s_clause 0x2
	global_load_dwordx4 v[124:127], v[122:123], off offset:1392
	global_load_dwordx2 v[216:217], v[120:121], off offset:32
	global_load_dwordx4 v[120:123], v[120:121], off offset:16
	v_mul_f32_e32 v0, v141, v235
	v_fmac_f32_e32 v148, v149, v116
	v_fma_f32 v149, v140, v234, -v0
	s_waitcnt vmcnt(2)
	v_mul_f32_e32 v0, v159, v125
	v_mul_f32_e32 v3, v152, v127
	s_waitcnt vmcnt(0)
	v_mul_f32_e32 v140, v151, v121
	v_mul_f32_e32 v141, v150, v121
	v_mul_f32_e32 v205, v158, v125
	v_fma_f32 v204, v158, v124, -v0
	v_mul_f32_e32 v0, v153, v127
	v_fma_f32 v140, v150, v120, -v140
	v_mul_f32_e32 v150, v145, v123
	v_fmac_f32_e32 v141, v151, v120
	v_mul_f32_e32 v151, v144, v123
	v_fmac_f32_e32 v3, v153, v126
	v_add_f32_e32 v153, v173, v175
	v_fma_f32 v150, v144, v122, -v150
	v_mul_f32_e32 v144, v143, v217
	v_fmac_f32_e32 v151, v145, v122
	v_add_f32_e32 v145, v172, v174
	v_fma_f32 v0, v152, v126, -v0
	v_fmac_f32_e32 v205, v159, v124
	v_fma_f32 v144, v142, v216, -v144
	v_mul_f32_e32 v142, v142, v217
	v_add_f32_e32 v159, v163, v171
	v_fmac_f32_e32 v142, v143, v216
	v_add_f32_e32 v143, v136, v172
	v_fma_f32 v136, -0.5, v145, v136
	v_sub_f32_e32 v145, v173, v175
	v_add_f32_e32 v143, v143, v174
	v_fmamk_f32 v152, v145, 0x3f5db3d7, v136
	v_fmac_f32_e32 v136, 0xbf5db3d7, v145
	v_add_f32_e32 v145, v137, v173
	v_fma_f32 v137, -0.5, v153, v137
	v_sub_f32_e32 v153, v172, v174
	v_add_f32_e32 v145, v145, v175
	v_fmamk_f32 v156, v153, 0xbf5db3d7, v137
	v_fmac_f32_e32 v137, 0x3f5db3d7, v153
	v_add_f32_e32 v153, v160, v162
	v_fmac_f32_e32 v160, -0.5, v157
	v_sub_f32_e32 v157, v163, v171
	v_add_f32_e32 v153, v153, v170
	v_fmamk_f32 v158, v157, 0x3f5db3d7, v160
	v_fmac_f32_e32 v160, 0xbf5db3d7, v157
	v_add_f32_e32 v157, v161, v163
	v_fmac_f32_e32 v161, -0.5, v159
	v_sub_f32_e32 v159, v162, v170
	v_add_f32_e32 v162, v143, v153
	v_sub_f32_e32 v182, v143, v153
	v_add_f32_e32 v157, v157, v171
	v_mul_f32_e32 v171, -0.5, v160
	v_fmamk_f32 v170, v159, 0xbf5db3d7, v161
	v_fmac_f32_e32 v161, 0x3f5db3d7, v159
	v_add_f32_e32 v153, v146, v166
	v_add_f32_e32 v163, v145, v157
	v_sub_f32_e32 v183, v145, v157
	v_mul_f32_e32 v159, 0x3f5db3d7, v170
	v_fmac_f32_e32 v171, 0x3f5db3d7, v161
	v_mul_f32_e32 v161, -0.5, v161
	v_add_f32_e32 v145, v155, v169
	v_fmac_f32_e32 v159, 0.5, v158
	v_add_f32_e32 v172, v136, v171
	v_fmac_f32_e32 v161, 0xbf5db3d7, v160
	v_sub_f32_e32 v178, v136, v171
	v_add_f32_e32 v136, v138, v154
	v_add_f32_e32 v174, v152, v159
	v_sub_f32_e32 v180, v152, v159
	v_add_f32_e32 v173, v137, v161
	v_sub_f32_e32 v179, v137, v161
	v_add_f32_e32 v137, v154, v168
	v_add_f32_e32 v136, v136, v168
	v_mul_f32_e32 v158, 0xbf5db3d7, v158
	v_fma_f32 v137, -0.5, v137, v138
	v_sub_f32_e32 v138, v155, v169
	v_fmac_f32_e32 v158, 0.5, v170
	v_fmamk_f32 v143, v138, 0x3f5db3d7, v137
	v_fmac_f32_e32 v137, 0xbf5db3d7, v138
	v_add_f32_e32 v138, v139, v155
	v_fmac_f32_e32 v139, -0.5, v145
	v_sub_f32_e32 v145, v154, v168
	v_add_f32_e32 v175, v156, v158
	v_sub_f32_e32 v181, v156, v158
	v_add_f32_e32 v138, v138, v169
	v_fmamk_f32 v152, v145, 0xbf5db3d7, v139
	v_fmac_f32_e32 v139, 0x3f5db3d7, v145
	v_add_f32_e32 v145, v130, v146
	v_fmac_f32_e32 v130, -0.5, v153
	v_sub_f32_e32 v153, v147, v167
	v_sub_f32_e32 v146, v146, v166
	v_add_f32_e32 v145, v145, v166
	v_fmamk_f32 v154, v153, 0x3f5db3d7, v130
	v_fmac_f32_e32 v130, 0xbf5db3d7, v153
	v_add_f32_e32 v153, v131, v147
	v_add_f32_e32 v147, v147, v167
	;; [unrolled: 1-line block ×3, first 2 shown]
	v_mul_f32_e32 v157, 0xbf5db3d7, v154
	v_mul_f32_e32 v155, -0.5, v130
	v_add_f32_e32 v153, v153, v167
	v_fmac_f32_e32 v131, -0.5, v147
	v_sub_f32_e32 v186, v136, v145
	v_add_f32_e32 v145, v177, v195
	v_add_f32_e32 v185, v138, v153
	v_fmamk_f32 v147, v146, 0xbf5db3d7, v131
	v_fmac_f32_e32 v131, 0x3f5db3d7, v146
	v_sub_f32_e32 v187, v138, v153
	v_mul_f32_e32 v146, 0x3f5db3d7, v147
	v_fmac_f32_e32 v155, 0x3f5db3d7, v131
	v_mul_f32_e32 v131, -0.5, v131
	v_fmac_f32_e32 v157, 0.5, v147
	v_fmac_f32_e32 v146, 0.5, v154
	v_add_f32_e32 v160, v137, v155
	v_fmac_f32_e32 v131, 0xbf5db3d7, v130
	v_sub_f32_e32 v154, v137, v155
	v_add_f32_e32 v130, v132, v194
	v_add_f32_e32 v137, v196, v198
	;; [unrolled: 1-line block ×4, first 2 shown]
	v_sub_f32_e32 v155, v139, v131
	v_add_f32_e32 v131, v194, v197
	v_add_f32_e32 v139, v176, v193
	v_sub_f32_e32 v156, v143, v146
	v_add_f32_e32 v130, v130, v197
	v_add_f32_e32 v171, v152, v157
	v_fma_f32 v131, -0.5, v131, v132
	v_sub_f32_e32 v132, v196, v198
	v_sub_f32_e32 v157, v152, v157
	v_fmamk_f32 v136, v132, 0x3f5db3d7, v131
	v_fmac_f32_e32 v131, 0xbf5db3d7, v132
	v_add_f32_e32 v132, v133, v196
	v_fma_f32 v133, -0.5, v137, v133
	v_sub_f32_e32 v137, v194, v197
	v_add_f32_e32 v132, v132, v198
	v_fmamk_f32 v138, v137, 0xbf5db3d7, v133
	v_fmac_f32_e32 v133, 0x3f5db3d7, v137
	v_add_f32_e32 v137, v164, v176
	v_fmac_f32_e32 v164, -0.5, v139
	v_sub_f32_e32 v139, v177, v195
	v_add_f32_e32 v137, v137, v193
	v_fmamk_f32 v143, v139, 0x3f5db3d7, v164
	v_fmac_f32_e32 v164, 0xbf5db3d7, v139
	v_add_f32_e32 v139, v165, v177
	v_fmac_f32_e32 v165, -0.5, v145
	v_sub_f32_e32 v145, v176, v193
	v_add_f32_e32 v152, v130, v137
	v_mul_f32_e32 v147, -0.5, v164
	v_add_f32_e32 v139, v139, v195
	v_sub_f32_e32 v193, v130, v137
	v_fmamk_f32 v146, v145, 0xbf5db3d7, v165
	v_fmac_f32_e32 v165, 0x3f5db3d7, v145
	v_add_f32_e32 v130, v134, v202
	v_add_f32_e32 v153, v132, v139
	v_sub_f32_e32 v194, v132, v139
	v_mul_f32_e32 v145, 0x3f5db3d7, v146
	v_fmac_f32_e32 v147, 0x3f5db3d7, v165
	v_sub_f32_e32 v132, v203, v250
	v_add_f32_e32 v130, v130, v207
	v_fmac_f32_e32 v145, 0.5, v143
	v_mul_f32_e32 v143, 0xbf5db3d7, v143
	v_add_f32_e32 v168, v131, v147
	v_add_f32_e32 v176, v136, v145
	v_fmac_f32_e32 v143, 0.5, v146
	v_mul_f32_e32 v146, -0.5, v165
	v_sub_f32_e32 v166, v136, v145
	v_add_f32_e32 v177, v138, v143
	v_fmac_f32_e32 v146, 0xbf5db3d7, v164
	v_sub_f32_e32 v164, v131, v147
	v_add_f32_e32 v131, v202, v207
	v_sub_f32_e32 v167, v138, v143
	ds_write_b64 v83, v[174:175] offset:4800
	ds_write_b64 v83, v[172:173] offset:9600
	;; [unrolled: 1-line block ×5, first 2 shown]
	ds_write2_b64 v83, v[162:163], v[184:185] offset1:120
	ds_write_b64 v83, v[186:187] offset:15360
	ds_write2_b64 v1, v[170:171], v[176:177] offset0:80 offset1:200
	v_add_f32_e32 v169, v133, v146
	v_sub_f32_e32 v165, v133, v146
	v_fma_f32 v131, -0.5, v131, v134
	v_fmamk_f32 v134, v132, 0x3f5db3d7, v131
	v_fmac_f32_e32 v131, 0xbf5db3d7, v132
	v_add_f32_e32 v132, v135, v203
	v_add_f32_e32 v136, v132, v250
	;; [unrolled: 1-line block ×3, first 2 shown]
	v_mov_b32_e32 v250, v245
	v_fmac_f32_e32 v135, -0.5, v132
	v_sub_f32_e32 v132, v202, v207
	v_mov_b32_e32 v207, v188
	v_fmamk_f32 v137, v132, 0xbf5db3d7, v135
	v_fmac_f32_e32 v135, 0x3f5db3d7, v132
	v_add_f32_e32 v132, v199, v201
	v_add_f32_e32 v138, v132, v149
	;; [unrolled: 1-line block ×4, first 2 shown]
	v_fmac_f32_e32 v199, -0.5, v132
	v_sub_f32_e32 v132, v148, v206
	v_sub_f32_e32 v195, v130, v138
	v_add_f32_e32 v130, v128, v0
	v_fmamk_f32 v133, v132, 0x3f5db3d7, v199
	v_fmac_f32_e32 v199, 0xbf5db3d7, v132
	v_add_f32_e32 v132, v200, v148
	v_mul_f32_e32 v198, 0xbf5db3d7, v133
	v_mul_f32_e32 v147, -0.5, v199
	v_add_f32_e32 v139, v132, v206
	v_add_f32_e32 v132, v148, v206
	v_mov_b32_e32 v206, v6
	v_add_f32_e32 v159, v136, v139
	v_fmac_f32_e32 v200, -0.5, v132
	v_sub_f32_e32 v132, v201, v149
	v_sub_f32_e32 v196, v136, v139
	v_fmamk_f32 v143, v132, 0xbf5db3d7, v200
	v_fmac_f32_e32 v200, 0x3f5db3d7, v132
	v_mul_f32_e32 v145, 0x3f5db3d7, v143
	v_fmac_f32_e32 v198, 0.5, v143
	v_mul_f32_e32 v143, -0.5, v200
	v_fmac_f32_e32 v147, 0x3f5db3d7, v200
	v_fmac_f32_e32 v145, 0.5, v133
	v_add_f32_e32 v133, v137, v198
	v_fmac_f32_e32 v143, 0xbf5db3d7, v199
	v_add_f32_e32 v148, v131, v147
	v_sub_f32_e32 v197, v131, v147
	v_add_f32_e32 v132, v134, v145
	v_sub_f32_e32 v146, v134, v145
	v_add_f32_e32 v134, v130, v150
	v_add_f32_e32 v130, v0, v150
	;; [unrolled: 1-line block ×3, first 2 shown]
	v_sub_f32_e32 v147, v137, v198
	v_sub_f32_e32 v198, v135, v143
	;; [unrolled: 1-line block ×3, first 2 shown]
	v_fma_f32 v128, -0.5, v130, v128
	v_sub_f32_e32 v130, v3, v151
	v_fmamk_f32 v135, v130, 0x3f5db3d7, v128
	v_fmac_f32_e32 v128, 0xbf5db3d7, v130
	v_add_f32_e32 v130, v129, v3
	v_add_f32_e32 v3, v3, v151
	;; [unrolled: 1-line block ×3, first 2 shown]
	v_fmac_f32_e32 v129, -0.5, v3
	v_add_f32_e32 v130, v140, v144
	v_fmamk_f32 v3, v0, 0xbf5db3d7, v129
	v_fmac_f32_e32 v129, 0x3f5db3d7, v0
	v_add_f32_e32 v0, v204, v140
	v_fmac_f32_e32 v204, -0.5, v130
	v_sub_f32_e32 v130, v141, v142
	v_add_f32_e32 v0, v0, v144
	v_fmamk_f32 v131, v130, 0x3f5db3d7, v204
	v_fmac_f32_e32 v204, 0xbf5db3d7, v130
	v_add_f32_e32 v130, v205, v141
	v_add_f32_e32 v145, v130, v142
	;; [unrolled: 1-line block ×3, first 2 shown]
	v_mul_f32_e32 v141, -0.5, v204
	v_add_f32_e32 v142, v134, v0
	v_add_f32_e32 v143, v137, v145
	v_fmac_f32_e32 v205, -0.5, v130
	v_sub_f32_e32 v130, v140, v144
	v_mul_f32_e32 v144, 0xbf5db3d7, v131
	v_sub_f32_e32 v137, v137, v145
	v_fmamk_f32 v136, v130, 0xbf5db3d7, v205
	v_fmac_f32_e32 v205, 0x3f5db3d7, v130
	v_mul_f32_e32 v140, 0x3f5db3d7, v136
	v_mul_f32_e32 v150, -0.5, v205
	v_fmac_f32_e32 v141, 0x3f5db3d7, v205
	v_fmac_f32_e32 v144, 0.5, v136
	v_sub_f32_e32 v136, v134, v0
	v_fmac_f32_e32 v140, 0.5, v131
	v_fmac_f32_e32 v150, 0xbf5db3d7, v204
	v_add_nc_u32_e32 v0, 0x2800, v83
	v_add_f32_e32 v130, v128, v141
	v_add_f32_e32 v139, v3, v144
	;; [unrolled: 1-line block ×4, first 2 shown]
	v_sub_f32_e32 v128, v128, v141
	v_sub_f32_e32 v129, v129, v150
	;; [unrolled: 1-line block ×4, first 2 shown]
	ds_write2_b64 v0, v[160:161], v[168:169] offset0:40 offset1:160
	ds_write2_b64 v4, v[156:157], v[166:167] offset0:88 offset1:208
	;; [unrolled: 1-line block ×4, first 2 shown]
	ds_write_b64 v83, v[148:149] offset:12480
	ds_write2_b64 v5, v[193:194], v[195:196] offset0:120 offset1:240
	ds_write_b64 v83, v[146:147] offset:22080
	ds_write_b64 v83, v[197:198] offset:26880
	;; [unrolled: 1-line block ×3, first 2 shown]
	ds_write2_b64 v190, v[132:133], v[138:139] offset0:64 offset1:184
	ds_write_b64 v83, v[130:131] offset:13440
	ds_write_b64 v83, v[136:137] offset:18240
	;; [unrolled: 1-line block ×4, first 2 shown]
	s_waitcnt lgkmcnt(0)
	s_barrier
	buffer_gl0_inv
	global_load_dwordx2 v[128:129], v83, s[2:3]
	ds_read2_b64 v[130:133], v83 offset1:120
	v_mov_b32_e32 v7, v0
	v_add_co_u32 v0, s4, s2, v83
	v_add_co_ci_u32_e64 v3, null, s3, 0, s4
	s_mul_i32 s4, s1, 0xb40
	v_add_co_u32 v178, vcc_lo, 0x800, v0
	v_add_co_ci_u32_e32 v179, vcc_lo, 0, v3, vcc_lo
	v_add_co_u32 v164, vcc_lo, 0x1000, v0
	v_add_co_ci_u32_e32 v165, vcc_lo, 0, v3, vcc_lo
	;; [unrolled: 2-line block ×8, first 2 shown]
	s_add_i32 s4, s5, s4
	s_mul_i32 s5, s0, 0xb40
	s_waitcnt vmcnt(0) lgkmcnt(0)
	v_mul_f32_e32 v134, v131, v129
	v_mul_f32_e32 v135, v130, v129
	v_fma_f32 v134, v130, v128, -v134
	v_fmac_f32_e32 v135, v131, v128
	global_load_dwordx2 v[128:129], v[178:179], off offset:832
	ds_write_b64 v83, v[134:135]
	ds_read2_b64 v[146:149], v245 offset0:112 offset1:232
	ds_read2_b64 v[138:141], v1 offset0:80 offset1:200
	;; [unrolled: 1-line block ×7, first 2 shown]
	v_mov_b32_e32 v245, v1
	v_add_nc_u32_e32 v1, 0x2400, v83
	v_mov_b32_e32 v190, v255
	v_mov_b32_e32 v6, v189
	;; [unrolled: 1-line block ×4, first 2 shown]
	s_waitcnt vmcnt(0) lgkmcnt(6)
	v_mul_f32_e32 v130, v149, v129
	v_mul_f32_e32 v181, v148, v129
	v_fma_f32 v180, v148, v128, -v130
	v_fmac_f32_e32 v181, v149, v128
	global_load_dwordx2 v[128:129], v[164:165], off offset:1664
	ds_read2_b64 v[148:151], v191 offset0:32 offset1:152
	s_waitcnt vmcnt(0) lgkmcnt(6)
	v_mul_f32_e32 v130, v139, v129
	v_mul_f32_e32 v163, v138, v129
	v_fma_f32 v162, v138, v128, -v130
	v_fmac_f32_e32 v163, v139, v128
	global_load_dwordx2 v[128:129], v[182:183], off offset:448
	s_waitcnt vmcnt(0) lgkmcnt(5)
	v_mul_f32_e32 v130, v145, v129
	v_mul_f32_e32 v185, v144, v129
	v_fma_f32 v184, v144, v128, -v130
	v_fmac_f32_e32 v185, v145, v128
	global_load_dwordx2 v[128:129], v[156:157], off offset:1280
	v_add_co_u32 v144, vcc_lo, 0x6000, v0
	v_add_co_ci_u32_e32 v145, vcc_lo, 0, v3, vcc_lo
	s_waitcnt vmcnt(0) lgkmcnt(0)
	v_mul_f32_e32 v130, v149, v129
	v_mul_f32_e32 v155, v148, v129
	v_fma_f32 v154, v148, v128, -v130
	v_fmac_f32_e32 v155, v149, v128
	global_load_dwordx2 v[128:129], v[152:153], off offset:64
	s_waitcnt vmcnt(0)
	v_mul_f32_e32 v130, v137, v129
	v_mul_f32_e32 v187, v136, v129
	v_fma_f32 v186, v136, v128, -v130
	v_fmac_f32_e32 v187, v137, v128
	global_load_dwordx2 v[128:129], v[193:194], off offset:896
	ds_read2_b64 v[136:139], v253 offset0:96 offset1:216
	s_waitcnt vmcnt(0)
	v_mul_f32_e32 v130, v167, v129
	v_mul_f32_e32 v159, v166, v129
	v_fma_f32 v158, v166, v128, -v130
	v_fmac_f32_e32 v159, v167, v128
	global_load_dwordx2 v[128:129], v[160:161], off offset:1728
	s_waitcnt vmcnt(0) lgkmcnt(0)
	v_mul_f32_e32 v130, v139, v129
	v_mul_f32_e32 v196, v138, v129
	v_fma_f32 v195, v138, v128, -v130
	v_fmac_f32_e32 v196, v139, v128
	s_clause 0x1
	global_load_dwordx2 v[128:129], v[197:198], off offset:512
	global_load_dwordx2 v[138:139], v[144:145], off offset:1344
	s_waitcnt vmcnt(1)
	v_mul_f32_e32 v130, v171, v129
	v_mul_f32_e32 v149, v170, v129
	v_fma_f32 v148, v170, v128, -v130
	v_fmac_f32_e32 v149, v171, v128
	ds_read2_b64 v[128:131], v189 offset0:48 offset1:168
	v_mov_b32_e32 v189, v252
	s_waitcnt vmcnt(0) lgkmcnt(0)
	v_mul_f32_e32 v166, v131, v139
	v_mul_f32_e32 v171, v130, v139
	v_fma_f32 v170, v130, v138, -v166
	v_fmac_f32_e32 v171, v131, v138
	global_load_dwordx2 v[130:131], v83, s[2:3] offset:960
	s_waitcnt vmcnt(0)
	v_mul_f32_e32 v138, v133, v131
	v_mul_f32_e32 v200, v132, v131
	v_fma_f32 v199, v132, v130, -v138
	v_fmac_f32_e32 v200, v133, v130
	global_load_dwordx2 v[130:131], v[178:179], off offset:1792
	s_waitcnt vmcnt(0)
	v_mul_f32_e32 v132, v175, v131
	v_mul_f32_e32 v133, v174, v131
	v_fma_f32 v132, v174, v130, -v132
	v_add_co_u32 v174, vcc_lo, 0x1800, v0
	v_fmac_f32_e32 v133, v175, v130
	v_add_nc_u32_e32 v130, 0x800, v83
	v_add_co_ci_u32_e32 v175, vcc_lo, 0, v3, vcc_lo
	ds_write2_b64 v130, v[180:181], v[132:133] offset0:104 offset1:224
	global_load_dwordx2 v[130:131], v[174:175], off offset:576
	ds_read2_b64 v[178:181], v1 offset0:48 offset1:168
	s_waitcnt vmcnt(0)
	v_mul_f32_e32 v132, v141, v131
	v_mul_f32_e32 v202, v140, v131
	v_fma_f32 v201, v140, v130, -v132
	v_fmac_f32_e32 v202, v141, v130
	global_load_dwordx2 v[130:131], v[182:183], off offset:1408
	ds_read2_b64 v[138:141], v252 offset0:80 offset1:200
	v_mov_b32_e32 v252, v253
	s_waitcnt vmcnt(0) lgkmcnt(1)
	v_mul_f32_e32 v132, v179, v131
	v_mul_f32_e32 v133, v178, v131
	v_fma_f32 v132, v178, v130, -v132
	v_add_co_u32 v178, vcc_lo, 0x3000, v0
	v_fmac_f32_e32 v133, v179, v130
	v_add_nc_u32_e32 v130, 0x2000, v83
	v_add_co_ci_u32_e32 v179, vcc_lo, 0, v3, vcc_lo
	v_add_co_u32 v166, vcc_lo, 0x5000, v0
	ds_write2_b64 v130, v[184:185], v[132:133] offset0:56 offset1:176
	global_load_dwordx2 v[130:131], v[178:179], off offset:192
	ds_read2_b64 v[182:185], v254 offset0:128 offset1:248
	v_add_co_ci_u32_e32 v167, vcc_lo, 0, v3, vcc_lo
	s_waitcnt vmcnt(0)
	v_mul_f32_e32 v132, v151, v131
	v_mul_f32_e32 v204, v150, v131
	v_fma_f32 v203, v150, v130, -v132
	v_fmac_f32_e32 v204, v151, v130
	buffer_load_dword v130, off, s[20:23], 0 offset:216 ; 4-byte Folded Reload
	s_waitcnt vmcnt(0)
	global_load_dwordx2 v[130:131], v130, s[2:3]
	s_waitcnt vmcnt(0) lgkmcnt(0)
	v_mul_f32_e32 v132, v183, v131
	v_mul_f32_e32 v133, v182, v131
	v_fma_f32 v132, v182, v130, -v132
	v_fmac_f32_e32 v133, v183, v130
	global_load_dwordx2 v[130:131], v[193:194], off offset:1856
	ds_write2_b64 v254, v[186:187], v[132:133] offset0:8 offset1:128
	v_mov_b32_e32 v186, v192
	v_mov_b32_e32 v254, v206
	s_waitcnt vmcnt(0)
	v_mul_f32_e32 v132, v169, v131
	v_mul_f32_e32 v183, v168, v131
	v_fma_f32 v182, v168, v130, -v132
	v_fmac_f32_e32 v183, v169, v130
	global_load_dwordx2 v[130:131], v[166:167], off offset:640
	s_waitcnt vmcnt(0)
	v_mul_f32_e32 v132, v139, v131
	v_mul_f32_e32 v133, v138, v131
	v_fma_f32 v132, v138, v130, -v132
	v_fmac_f32_e32 v133, v139, v130
	global_load_dwordx2 v[130:131], v[197:198], off offset:1472
	v_add_co_u32 v138, vcc_lo, 0x6800, v0
	v_add_co_ci_u32_e32 v139, vcc_lo, 0, v3, vcc_lo
	ds_write2_b64 v4, v[195:196], v[132:133] offset0:88 offset1:208
	v_mov_b32_e32 v4, v245
	global_load_dwordx2 v[168:169], v[138:139], off offset:256
	s_waitcnt vmcnt(1)
	v_mul_f32_e32 v132, v173, v131
	v_mul_f32_e32 v151, v172, v131
	v_fma_f32 v150, v172, v130, -v132
	v_fmac_f32_e32 v151, v173, v130
	ds_read2_b64 v[130:133], v192 offset0:32 offset1:152
	s_waitcnt vmcnt(0) lgkmcnt(0)
	v_mul_f32_e32 v0, v131, v169
	v_mul_f32_e32 v173, v130, v169
	v_fma_f32 v172, v130, v168, -v0
	v_fmac_f32_e32 v173, v131, v168
	global_load_dwordx2 v[130:131], v83, s[2:3] offset:1920
	v_add_nc_u32_e32 v0, 0x6400, v83
	s_mov_b32 s2, 0x789abcdf
	s_mov_b32 s3, 0x3f323456
	ds_write2_b64 v0, v[170:171], v[172:173] offset0:40 offset1:160
	s_waitcnt vmcnt(0)
	v_mul_f32_e32 v0, v147, v131
	v_mul_f32_e32 v169, v146, v131
	v_fma_f32 v168, v146, v130, -v0
	v_fmac_f32_e32 v169, v147, v130
	global_load_dwordx2 v[130:131], v[164:165], off offset:704
	ds_write2_b64 v83, v[199:200], v[168:169] offset0:120 offset1:240
	s_waitcnt vmcnt(0)
	v_mul_f32_e32 v0, v177, v131
	v_mul_f32_e32 v147, v176, v131
	v_fma_f32 v146, v176, v130, -v0
	v_fmac_f32_e32 v147, v177, v130
	global_load_dwordx2 v[130:131], v[174:175], off offset:1536
	v_add_nc_u32_e32 v0, 0x1000, v83
	ds_write2_b64 v0, v[146:147], v[162:163] offset0:88 offset1:208
	s_waitcnt vmcnt(0)
	v_mul_f32_e32 v0, v143, v131
	v_mul_f32_e32 v147, v142, v131
	v_fma_f32 v146, v142, v130, -v0
	v_fmac_f32_e32 v147, v143, v130
	global_load_dwordx2 v[130:131], v[156:157], off offset:320
	v_add_nc_u32_e32 v0, 0x1800, v83
	ds_write2_b64 v0, v[201:202], v[146:147] offset0:72 offset1:192
	s_waitcnt vmcnt(0)
	v_mul_f32_e32 v0, v181, v131
	v_mul_f32_e32 v143, v180, v131
	v_fma_f32 v142, v180, v130, -v0
	v_fmac_f32_e32 v143, v181, v130
	global_load_dwordx2 v[130:131], v[178:179], off offset:1152
	ds_write2_b64 v7, v[142:143], v[154:155] offset0:40 offset1:160
	v_mov_b32_e32 v7, v190
	s_waitcnt vmcnt(0)
	v_mul_f32_e32 v0, v135, v131
	v_mul_f32_e32 v143, v134, v131
	v_fma_f32 v142, v134, v130, -v0
	v_fmac_f32_e32 v143, v135, v130
	global_load_dwordx2 v[130:131], v[152:153], off offset:1984
	v_add_nc_u32_e32 v0, 0x3000, v83
	ds_write2_b64 v0, v[203:204], v[142:143] offset0:24 offset1:144
	s_waitcnt vmcnt(0)
	v_mul_f32_e32 v0, v185, v131
	v_mul_f32_e32 v135, v184, v131
	v_fma_f32 v134, v184, v130, -v0
	v_fmac_f32_e32 v135, v185, v130
	global_load_dwordx2 v[130:131], v[160:161], off offset:768
	ds_write2_b64 v5, v[134:135], v[158:159] offset0:120 offset1:240
	v_mov_b32_e32 v5, v207
	s_waitcnt vmcnt(0)
	v_mul_f32_e32 v0, v137, v131
	v_mul_f32_e32 v135, v136, v131
	v_fma_f32 v134, v136, v130, -v0
	v_fmac_f32_e32 v135, v137, v130
	global_load_dwordx2 v[130:131], v[166:167], off offset:1600
	v_add_nc_u32_e32 v0, 0x4400, v83
	ds_write2_b64 v0, v[182:183], v[134:135] offset0:104 offset1:224
	s_waitcnt vmcnt(0)
	v_mul_f32_e32 v0, v141, v131
	v_mul_f32_e32 v135, v140, v131
	v_fma_f32 v134, v140, v130, -v0
	v_fmac_f32_e32 v135, v141, v130
	global_load_dwordx2 v[130:131], v[144:145], off offset:384
	v_add_nc_u32_e32 v0, 0x5400, v83
	ds_write2_b64 v0, v[134:135], v[148:149] offset0:72 offset1:192
	;; [unrolled: 8-line block ×3, first 2 shown]
	s_waitcnt vmcnt(0)
	v_mul_f32_e32 v0, v133, v129
	v_mul_f32_e32 v131, v132, v129
	v_fma_f32 v130, v132, v128, -v0
	v_fmac_f32_e32 v131, v133, v128
	ds_write_b64 v83, v[130:131] offset:27840
	s_waitcnt lgkmcnt(0)
	s_barrier
	buffer_gl0_inv
	ds_read2_b64 v[148:151], v83 offset1:120
	ds_read2_b64 v[128:131], v250 offset0:112 offset1:232
	ds_read2_b64 v[152:155], v245 offset0:80 offset1:200
	;; [unrolled: 1-line block ×12, first 2 shown]
	v_mov_b32_e32 v245, v188
	ds_read2_b64 v[144:147], v189 offset0:80 offset1:200
	v_mov_b32_e32 v253, v189
	ds_read2_b64 v[188:191], v186 offset0:32 offset1:152
	s_waitcnt lgkmcnt(0)
	s_barrier
	buffer_gl0_inv
	v_add_f32_e32 v0, v148, v152
	v_sub_f32_e32 v164, v152, v156
	v_sub_f32_e32 v3, v157, v161
	;; [unrolled: 1-line block ×3, first 2 shown]
	v_add_f32_e32 v0, v0, v156
	v_sub_f32_e32 v172, v207, v203
	v_sub_f32_e32 v173, v203, v207
	v_add_f32_e32 v164, v164, v165
	v_sub_f32_e32 v165, v160, v166
	v_add_f32_e32 v0, v0, v160
	v_add_f32_e32 v171, v0, v166
	;; [unrolled: 1-line block ×3, first 2 shown]
	v_fma_f32 v170, -0.5, v0, v148
	v_sub_f32_e32 v0, v153, v167
	v_fmamk_f32 v176, v0, 0xbf737871, v170
	v_fmac_f32_e32 v170, 0x3f737871, v0
	v_fmac_f32_e32 v176, 0xbf167918, v3
	;; [unrolled: 1-line block ×5, first 2 shown]
	v_add_f32_e32 v164, v152, v166
	v_fma_f32 v148, -0.5, v164, v148
	v_sub_f32_e32 v164, v156, v152
	v_fmamk_f32 v177, v3, 0x3f737871, v148
	v_fmac_f32_e32 v148, 0xbf737871, v3
	v_sub_f32_e32 v3, v156, v160
	v_sub_f32_e32 v156, v153, v157
	;; [unrolled: 1-line block ×3, first 2 shown]
	v_fmac_f32_e32 v177, 0xbf167918, v0
	v_fmac_f32_e32 v148, 0x3f167918, v0
	v_add_f32_e32 v0, v149, v153
	v_add_f32_e32 v164, v164, v165
	;; [unrolled: 1-line block ×3, first 2 shown]
	v_sub_f32_e32 v160, v199, v203
	v_sub_f32_e32 v165, v202, v206
	v_add_f32_e32 v0, v0, v157
	v_fmac_f32_e32 v177, 0x3e9e377a, v164
	v_fmac_f32_e32 v148, 0x3e9e377a, v164
	v_sub_f32_e32 v164, v206, v202
	v_add_f32_e32 v0, v0, v161
	v_add_f32_e32 v181, v0, v167
	;; [unrolled: 1-line block ×3, first 2 shown]
	v_fma_f32 v179, -0.5, v0, v149
	v_sub_f32_e32 v0, v152, v166
	v_sub_f32_e32 v166, v198, v202
	v_fmamk_f32 v152, v0, 0x3f737871, v179
	v_fmac_f32_e32 v179, 0xbf737871, v0
	v_fmac_f32_e32 v152, 0x3f167918, v3
	;; [unrolled: 1-line block ×5, first 2 shown]
	v_add_f32_e32 v156, v153, v167
	v_sub_f32_e32 v153, v157, v153
	v_sub_f32_e32 v157, v161, v167
	;; [unrolled: 1-line block ×4, first 2 shown]
	v_fma_f32 v149, -0.5, v156, v149
	v_add_f32_e32 v153, v153, v157
	v_add_f32_e32 v161, v161, v164
	v_sub_f32_e32 v164, v198, v194
	v_fmamk_f32 v156, v3, 0xbf737871, v149
	v_fmac_f32_e32 v149, 0x3f737871, v3
	v_add_f32_e32 v3, v198, v202
	v_add_f32_e32 v167, v167, v172
	v_add_f32_e32 v164, v164, v165
	v_fmac_f32_e32 v156, 0x3f167918, v0
	v_fmac_f32_e32 v149, 0xbf167918, v0
	v_fma_f32 v3, -0.5, v3, v130
	v_add_f32_e32 v0, v130, v194
	v_sub_f32_e32 v172, v199, v195
	v_fmac_f32_e32 v156, 0x3e9e377a, v153
	v_fmac_f32_e32 v149, 0x3e9e377a, v153
	v_sub_f32_e32 v153, v195, v207
	v_add_f32_e32 v0, v0, v198
	v_add_f32_e32 v172, v172, v173
	v_fmamk_f32 v157, v153, 0xbf737871, v3
	v_fmac_f32_e32 v3, 0x3f737871, v153
	v_add_f32_e32 v0, v0, v202
	v_fmac_f32_e32 v157, 0xbf167918, v160
	v_fmac_f32_e32 v3, 0x3f167918, v160
	v_add_f32_e32 v0, v0, v206
	v_fmac_f32_e32 v157, 0x3e9e377a, v161
	v_fmac_f32_e32 v3, 0x3e9e377a, v161
	v_add_f32_e32 v161, v194, v206
	v_add_f32_e32 v184, v171, v0
	v_fma_f32 v130, -0.5, v161, v130
	v_fmamk_f32 v161, v160, 0x3f737871, v130
	v_fmac_f32_e32 v130, 0xbf737871, v160
	v_add_f32_e32 v160, v199, v203
	v_fmac_f32_e32 v161, 0xbf167918, v153
	v_fmac_f32_e32 v130, 0x3f167918, v153
	v_fma_f32 v160, -0.5, v160, v131
	v_add_f32_e32 v153, v131, v195
	v_fmac_f32_e32 v161, 0x3e9e377a, v164
	v_fmac_f32_e32 v130, 0x3e9e377a, v164
	v_sub_f32_e32 v164, v194, v206
	v_add_f32_e32 v153, v153, v199
	v_mov_b32_e32 v206, v5
	v_fmamk_f32 v165, v164, 0x3f737871, v160
	v_fmac_f32_e32 v160, 0xbf737871, v164
	v_add_f32_e32 v153, v153, v203
	v_mov_b32_e32 v203, v4
	v_fmac_f32_e32 v165, 0x3f167918, v166
	v_fmac_f32_e32 v160, 0xbf167918, v166
	v_add_f32_e32 v153, v153, v207
	v_fmac_f32_e32 v165, 0x3e9e377a, v167
	v_fmac_f32_e32 v160, 0x3e9e377a, v167
	v_add_f32_e32 v167, v195, v207
	v_add_f32_e32 v185, v181, v153
	v_mul_f32_e32 v178, 0xbf167918, v165
	v_mul_f32_e32 v194, 0xbf167918, v160
	v_fma_f32 v131, -0.5, v167, v131
	v_fmac_f32_e32 v178, 0x3f4f1bbd, v157
	v_fmac_f32_e32 v194, 0xbf4f1bbd, v3
	v_fmamk_f32 v167, v166, 0xbf737871, v131
	v_fmac_f32_e32 v131, 0x3f737871, v166
	v_mul_f32_e32 v157, 0x3f167918, v157
	v_add_f32_e32 v186, v176, v178
	v_sub_f32_e32 v180, v176, v178
	v_fmac_f32_e32 v167, 0x3f167918, v164
	v_fmac_f32_e32 v131, 0xbf167918, v164
	;; [unrolled: 1-line block ×3, first 2 shown]
	v_sub_f32_e32 v166, v171, v0
	v_add_f32_e32 v0, v150, v154
	v_fmac_f32_e32 v167, 0x3e9e377a, v172
	v_fmac_f32_e32 v131, 0x3e9e377a, v172
	v_add_f32_e32 v187, v152, v157
	v_add_f32_e32 v164, v170, v194
	v_sub_f32_e32 v178, v170, v194
	v_mul_f32_e32 v182, 0xbf737871, v167
	v_mul_f32_e32 v183, 0xbf737871, v131
	;; [unrolled: 1-line block ×4, first 2 shown]
	v_sub_f32_e32 v167, v181, v153
	v_fmac_f32_e32 v182, 0x3e9e377a, v161
	v_fmac_f32_e32 v183, 0xbe9e377a, v130
	;; [unrolled: 1-line block ×3, first 2 shown]
	v_mul_f32_e32 v130, 0xbf4f1bbd, v160
	v_sub_f32_e32 v181, v152, v157
	v_add_f32_e32 v172, v177, v182
	v_add_f32_e32 v174, v148, v183
	;; [unrolled: 1-line block ×3, first 2 shown]
	v_fmac_f32_e32 v130, 0x3f167918, v3
	v_add_f32_e32 v3, v158, v162
	v_sub_f32_e32 v182, v177, v182
	v_sub_f32_e32 v176, v148, v183
	;; [unrolled: 1-line block ×3, first 2 shown]
	v_add_f32_e32 v165, v179, v130
	v_sub_f32_e32 v179, v179, v130
	v_fma_f32 v3, -0.5, v3, v150
	v_sub_f32_e32 v130, v155, v169
	v_sub_f32_e32 v148, v159, v163
	;; [unrolled: 1-line block ×5, first 2 shown]
	v_fmamk_f32 v131, v130, 0xbf737871, v3
	v_fmac_f32_e32 v3, 0x3f737871, v130
	v_fmac_f32_e32 v195, 0x3f737871, v161
	v_add_f32_e32 v149, v149, v152
	v_sub_f32_e32 v152, v158, v154
	v_fmac_f32_e32 v131, 0xbf167918, v148
	v_fmac_f32_e32 v3, 0x3f167918, v148
	v_add_f32_e32 v173, v156, v195
	v_sub_f32_e32 v183, v156, v195
	v_add_f32_e32 v152, v152, v153
	v_fmac_f32_e32 v131, 0x3e9e377a, v149
	v_fmac_f32_e32 v3, 0x3e9e377a, v149
	v_add_f32_e32 v149, v154, v168
	v_sub_f32_e32 v156, v169, v163
	v_add_f32_e32 v0, v0, v158
	v_sub_f32_e32 v157, v136, v140
	v_fma_f32 v149, -0.5, v149, v150
	v_add_f32_e32 v0, v0, v162
	v_fmamk_f32 v150, v148, 0x3f737871, v149
	v_fmac_f32_e32 v149, 0xbf737871, v148
	v_add_f32_e32 v148, v159, v163
	v_add_f32_e32 v0, v0, v168
	v_fmac_f32_e32 v150, 0xbf167918, v130
	v_fmac_f32_e32 v149, 0x3f167918, v130
	v_fma_f32 v194, -0.5, v148, v151
	v_sub_f32_e32 v148, v154, v168
	v_sub_f32_e32 v154, v155, v159
	v_fmac_f32_e32 v150, 0x3e9e377a, v152
	v_fmac_f32_e32 v149, 0x3e9e377a, v152
	v_sub_f32_e32 v152, v158, v162
	v_fmamk_f32 v153, v148, 0x3f737871, v194
	v_fmac_f32_e32 v194, 0xbf737871, v148
	v_add_f32_e32 v154, v154, v156
	v_add_f32_e32 v130, v151, v155
	v_sub_f32_e32 v156, v141, v145
	v_fmac_f32_e32 v153, 0x3f167918, v152
	v_fmac_f32_e32 v194, 0xbf167918, v152
	v_sub_f32_e32 v158, v188, v144
	v_add_f32_e32 v130, v130, v159
	v_fmac_f32_e32 v153, 0x3e9e377a, v154
	v_fmac_f32_e32 v194, 0x3e9e377a, v154
	v_add_f32_e32 v154, v155, v169
	v_add_f32_e32 v157, v157, v158
	v_sub_f32_e32 v158, v140, v136
	v_add_f32_e32 v130, v130, v163
	v_fmac_f32_e32 v151, -0.5, v154
	v_sub_f32_e32 v154, v159, v155
	v_sub_f32_e32 v155, v163, v169
	;; [unrolled: 1-line block ×3, first 2 shown]
	v_add_f32_e32 v130, v130, v169
	v_fmamk_f32 v195, v152, 0xbf737871, v151
	v_fmac_f32_e32 v151, 0x3f737871, v152
	v_add_f32_e32 v154, v154, v155
	v_add_f32_e32 v152, v140, v144
	;; [unrolled: 1-line block ×3, first 2 shown]
	v_fmac_f32_e32 v195, 0x3f167918, v148
	v_fmac_f32_e32 v151, 0xbf167918, v148
	v_add_f32_e32 v148, v132, v136
	v_fma_f32 v152, -0.5, v152, v132
	v_fmac_f32_e32 v195, 0x3e9e377a, v154
	v_fmac_f32_e32 v151, 0x3e9e377a, v154
	v_sub_f32_e32 v154, v137, v189
	v_add_f32_e32 v148, v148, v140
	v_sub_f32_e32 v140, v140, v144
	v_fmamk_f32 v155, v154, 0xbf737871, v152
	v_fmac_f32_e32 v152, 0x3f737871, v154
	v_add_f32_e32 v148, v148, v144
	v_sub_f32_e32 v144, v137, v141
	v_fmac_f32_e32 v155, 0xbf167918, v156
	v_fmac_f32_e32 v152, 0x3f167918, v156
	v_add_f32_e32 v148, v148, v188
	v_fmac_f32_e32 v155, 0x3e9e377a, v157
	v_fmac_f32_e32 v152, 0x3e9e377a, v157
	v_add_f32_e32 v157, v136, v188
	v_sub_f32_e32 v136, v136, v188
	v_add_f32_e32 v168, v0, v148
	v_fma_f32 v132, -0.5, v157, v132
	v_fmamk_f32 v157, v156, 0x3f737871, v132
	v_fmac_f32_e32 v132, 0xbf737871, v156
	v_sub_f32_e32 v156, v189, v145
	v_fmac_f32_e32 v157, 0xbf167918, v154
	v_fmac_f32_e32 v132, 0x3f167918, v154
	v_add_f32_e32 v154, v133, v137
	v_add_f32_e32 v144, v144, v156
	v_fmac_f32_e32 v157, 0x3e9e377a, v158
	v_fmac_f32_e32 v132, 0x3e9e377a, v158
	v_add_f32_e32 v154, v154, v141
	v_add_f32_e32 v154, v154, v145
	;; [unrolled: 1-line block ×5, first 2 shown]
	v_fma_f32 v154, -0.5, v154, v133
	v_sub_f32_e32 v159, v130, v159
	v_sub_f32_e32 v130, v193, v205
	v_fmamk_f32 v158, v136, 0x3f737871, v154
	v_fmac_f32_e32 v154, 0xbf737871, v136
	v_fmac_f32_e32 v158, 0x3f167918, v140
	v_fmac_f32_e32 v154, 0xbf167918, v140
	v_fmac_f32_e32 v158, 0x3e9e377a, v144
	v_fmac_f32_e32 v154, 0x3e9e377a, v144
	v_add_f32_e32 v144, v137, v189
	v_sub_f32_e32 v137, v141, v137
	v_sub_f32_e32 v141, v145, v189
	v_mul_f32_e32 v145, 0x3f167918, v155
	v_fma_f32 v133, -0.5, v144, v133
	v_add_f32_e32 v137, v137, v141
	v_mul_f32_e32 v141, 0xbf167918, v154
	v_fmac_f32_e32 v145, 0x3f4f1bbd, v158
	v_fmamk_f32 v144, v140, 0xbf737871, v133
	v_fmac_f32_e32 v133, 0x3f737871, v140
	v_fmac_f32_e32 v141, 0xbf4f1bbd, v152
	v_add_f32_e32 v171, v153, v145
	v_fmac_f32_e32 v144, 0x3f167918, v136
	v_fmac_f32_e32 v133, 0xbf167918, v136
	v_mul_f32_e32 v136, 0xbf167918, v158
	v_add_f32_e32 v156, v3, v141
	v_sub_f32_e32 v158, v0, v148
	v_fmac_f32_e32 v144, 0x3e9e377a, v137
	v_fmac_f32_e32 v133, 0x3e9e377a, v137
	;; [unrolled: 1-line block ×3, first 2 shown]
	v_add_f32_e32 v0, v128, v192
	v_sub_f32_e32 v153, v153, v145
	v_mul_f32_e32 v137, 0xbf737871, v144
	v_mul_f32_e32 v140, 0xbf737871, v133
	;; [unrolled: 1-line block ×4, first 2 shown]
	v_add_f32_e32 v170, v131, v136
	v_fmac_f32_e32 v137, 0x3e9e377a, v157
	v_fmac_f32_e32 v140, 0xbe9e377a, v132
	;; [unrolled: 1-line block ×3, first 2 shown]
	v_mul_f32_e32 v132, 0xbf4f1bbd, v154
	v_fmac_f32_e32 v144, 0x3f737871, v157
	v_add_f32_e32 v160, v150, v137
	v_sub_f32_e32 v154, v150, v137
	v_sub_f32_e32 v150, v3, v141
	v_add_f32_e32 v3, v196, v200
	v_fmac_f32_e32 v132, 0x3f167918, v152
	v_add_f32_e32 v162, v149, v140
	v_add_f32_e32 v163, v151, v133
	v_sub_f32_e32 v152, v131, v136
	v_fma_f32 v3, -0.5, v3, v128
	v_add_f32_e32 v157, v194, v132
	v_sub_f32_e32 v148, v149, v140
	v_sub_f32_e32 v149, v151, v133
	;; [unrolled: 1-line block ×3, first 2 shown]
	v_fmamk_f32 v131, v130, 0xbf737871, v3
	v_sub_f32_e32 v132, v197, v201
	v_sub_f32_e32 v133, v192, v196
	;; [unrolled: 1-line block ×3, first 2 shown]
	v_fmac_f32_e32 v3, 0x3f737871, v130
	v_sub_f32_e32 v137, v200, v204
	v_fmac_f32_e32 v131, 0xbf167918, v132
	v_add_f32_e32 v161, v195, v144
	v_add_f32_e32 v133, v133, v136
	v_fmac_f32_e32 v3, 0x3f167918, v132
	v_sub_f32_e32 v136, v196, v192
	v_sub_f32_e32 v155, v195, v144
	;; [unrolled: 1-line block ×3, first 2 shown]
	v_fmac_f32_e32 v131, 0x3e9e377a, v133
	v_fmac_f32_e32 v3, 0x3e9e377a, v133
	v_add_f32_e32 v133, v192, v204
	v_add_f32_e32 v136, v136, v137
	v_sub_f32_e32 v137, v205, v201
	v_sub_f32_e32 v141, v138, v142
	;; [unrolled: 1-line block ×3, first 2 shown]
	v_fma_f32 v128, -0.5, v133, v128
	v_sub_f32_e32 v145, v146, v190
	v_add_f32_e32 v0, v0, v196
	v_add_f32_e32 v141, v141, v144
	v_fmamk_f32 v133, v132, 0x3f737871, v128
	v_fmac_f32_e32 v128, 0xbf737871, v132
	v_sub_f32_e32 v132, v196, v200
	v_sub_f32_e32 v144, v142, v138
	v_add_f32_e32 v0, v0, v200
	v_fmac_f32_e32 v133, 0xbf167918, v130
	v_fmac_f32_e32 v128, 0x3f167918, v130
	v_add_f32_e32 v130, v129, v193
	v_add_f32_e32 v144, v144, v145
	v_add_f32_e32 v0, v0, v204
	v_fmac_f32_e32 v133, 0x3e9e377a, v136
	v_fmac_f32_e32 v128, 0x3e9e377a, v136
	v_add_f32_e32 v130, v130, v197
	v_sub_f32_e32 v136, v193, v197
	v_add_f32_e32 v130, v130, v201
	v_add_f32_e32 v136, v136, v137
	v_sub_f32_e32 v137, v201, v205
	v_add_f32_e32 v188, v130, v205
	v_add_f32_e32 v130, v197, v201
	v_fma_f32 v189, -0.5, v130, v129
	v_sub_f32_e32 v130, v192, v204
	v_fmamk_f32 v192, v130, 0x3f737871, v189
	v_fmac_f32_e32 v189, 0xbf737871, v130
	v_fmac_f32_e32 v192, 0x3f167918, v132
	;; [unrolled: 1-line block ×5, first 2 shown]
	v_add_f32_e32 v136, v193, v205
	v_fmac_f32_e32 v129, -0.5, v136
	v_sub_f32_e32 v136, v197, v193
	v_fmamk_f32 v194, v132, 0xbf737871, v129
	v_fmac_f32_e32 v129, 0x3f737871, v132
	v_add_f32_e32 v136, v136, v137
	v_add_f32_e32 v132, v142, v146
	v_fmac_f32_e32 v194, 0x3f167918, v130
	v_fmac_f32_e32 v129, 0xbf167918, v130
	v_add_f32_e32 v130, v134, v138
	v_fma_f32 v132, -0.5, v132, v134
	v_fmac_f32_e32 v194, 0x3e9e377a, v136
	v_fmac_f32_e32 v129, 0x3e9e377a, v136
	v_sub_f32_e32 v136, v139, v191
	v_add_f32_e32 v130, v130, v142
	v_fmamk_f32 v137, v136, 0xbf737871, v132
	v_fmac_f32_e32 v132, 0x3f737871, v136
	v_add_f32_e32 v130, v130, v146
	v_fmac_f32_e32 v137, 0xbf167918, v140
	v_fmac_f32_e32 v132, 0x3f167918, v140
	v_add_f32_e32 v130, v130, v190
	v_fmac_f32_e32 v137, 0x3e9e377a, v141
	v_fmac_f32_e32 v132, 0x3e9e377a, v141
	v_add_f32_e32 v141, v138, v190
	v_mul_f32_e32 v198, 0x3f167918, v137
	v_fma_f32 v134, -0.5, v141, v134
	v_fmamk_f32 v141, v140, 0x3f737871, v134
	v_fmac_f32_e32 v134, 0xbf737871, v140
	v_sub_f32_e32 v140, v142, v146
	v_sub_f32_e32 v142, v139, v143
	v_fmac_f32_e32 v141, 0xbf167918, v136
	v_fmac_f32_e32 v134, 0x3f167918, v136
	v_add_f32_e32 v136, v135, v139
	v_fmac_f32_e32 v141, 0x3e9e377a, v144
	v_fmac_f32_e32 v134, 0x3e9e377a, v144
	v_add_f32_e32 v136, v136, v143
	v_sub_f32_e32 v144, v191, v147
	v_add_f32_e32 v136, v136, v147
	v_add_f32_e32 v142, v142, v144
	;; [unrolled: 1-line block ×6, first 2 shown]
	v_fma_f32 v195, -0.5, v136, v135
	v_sub_f32_e32 v136, v138, v190
	v_fmamk_f32 v138, v136, 0x3f737871, v195
	v_fmac_f32_e32 v195, 0xbf737871, v136
	v_fmac_f32_e32 v138, 0x3f167918, v140
	;; [unrolled: 1-line block ×5, first 2 shown]
	v_add_f32_e32 v142, v139, v191
	v_sub_f32_e32 v139, v143, v139
	v_fmac_f32_e32 v198, 0x3f4f1bbd, v138
	v_mul_f32_e32 v197, 0xbf167918, v195
	v_fmac_f32_e32 v135, -0.5, v142
	v_sub_f32_e32 v142, v147, v191
	v_mul_f32_e32 v195, 0xbf4f1bbd, v195
	v_add_f32_e32 v147, v192, v198
	v_fmac_f32_e32 v197, 0xbf4f1bbd, v132
	v_fmamk_f32 v190, v140, 0xbf737871, v135
	v_fmac_f32_e32 v135, 0x3f737871, v140
	v_add_f32_e32 v139, v139, v142
	v_fmac_f32_e32 v195, 0x3f167918, v132
	v_fmac_f32_e32 v190, 0x3f167918, v136
	;; [unrolled: 1-line block ×3, first 2 shown]
	v_add_f32_e32 v136, v3, v197
	v_fmac_f32_e32 v190, 0x3e9e377a, v139
	v_fmac_f32_e32 v135, 0x3e9e377a, v139
	v_mul_f32_e32 v139, 0xbf167918, v138
	v_sub_f32_e32 v138, v0, v130
	v_sub_f32_e32 v130, v3, v197
	v_mul_f32_e32 v191, 0xbf737871, v190
	v_mul_f32_e32 v196, 0xbf737871, v135
	;; [unrolled: 1-line block ×4, first 2 shown]
	v_fmac_f32_e32 v139, 0x3f4f1bbd, v137
	v_fmac_f32_e32 v191, 0x3e9e377a, v141
	;; [unrolled: 1-line block ×5, first 2 shown]
	v_add_f32_e32 v146, v131, v139
	v_add_f32_e32 v140, v133, v191
	;; [unrolled: 1-line block ×3, first 2 shown]
	v_sub_f32_e32 v132, v131, v139
	v_add_f32_e32 v143, v129, v199
	v_sub_f32_e32 v134, v133, v191
	v_sub_f32_e32 v128, v128, v196
	;; [unrolled: 1-line block ×6, first 2 shown]
	v_add_f32_e32 v141, v194, v190
	v_add_f32_e32 v137, v189, v195
	v_sub_f32_e32 v139, v188, v193
	ds_write_b128 v82, v[184:187]
	ds_write_b128 v82, v[172:175] offset:16
	ds_write_b128 v82, v[164:167] offset:32
	ds_write_b128 v82, v[180:183] offset:48
	ds_write_b128 v82, v[176:179] offset:64
	ds_write_b128 v244, v[168:171]
	ds_write_b128 v244, v[160:163] offset:16
	ds_write_b128 v244, v[156:159] offset:32
	ds_write_b128 v244, v[152:155] offset:48
	ds_write_b128 v244, v[148:151] offset:64
	;; [unrolled: 5-line block ×3, first 2 shown]
	s_waitcnt lgkmcnt(0)
	s_barrier
	buffer_gl0_inv
	ds_read2_b64 v[132:135], v83 offset1:120
	ds_read2_b64 v[128:131], v250 offset0:112 offset1:232
	ds_read2_b64 v[144:147], v4 offset0:80 offset1:200
	;; [unrolled: 1-line block ×13, first 2 shown]
	v_add_nc_u32_e32 v4, 0x6800, v83
	ds_read2_b64 v[199:202], v4 offset0:32 offset1:152
	s_waitcnt lgkmcnt(0)
	s_barrier
	buffer_gl0_inv
	v_mul_f32_e32 v139, v41, v166
	v_mul_f32_e32 v161, v43, v168
	;; [unrolled: 1-line block ×9, first 2 shown]
	v_fmac_f32_e32 v162, v38, v175
	v_fmac_f32_e32 v82, v52, v130
	v_fma_f32 v130, v52, v131, -v0
	v_mul_f32_e32 v0, v55, v144
	v_fmac_f32_e32 v159, v54, v144
	v_fmac_f32_e32 v138, v44, v150
	v_mul_f32_e32 v160, v47, v153
	v_fmac_f32_e32 v161, v42, v167
	v_fma_f32 v142, v54, v145, -v0
	v_mul_f32_e32 v0, v45, v150
	v_mul_f32_e32 v52, v223, v155
	v_fmac_f32_e32 v160, v46, v152
	v_fmac_f32_e32 v158, v58, v179
	v_mul_f32_e32 v150, v61, v194
	v_fma_f32 v131, v44, v151, -v0
	v_mul_f32_e32 v0, v47, v152
	v_fmac_f32_e32 v52, v222, v154
	v_mul_f32_e32 v151, v57, v198
	v_fmac_f32_e32 v150, v60, v193
	v_mul_f32_e32 v157, v63, v172
	v_fma_f32 v143, v46, v153, -v0
	v_mul_f32_e32 v0, v41, v165
	v_mul_f32_e32 v46, v87, v147
	v_fmac_f32_e32 v151, v56, v197
	v_fmac_f32_e32 v157, v62, v171
	v_mul_f32_e32 v156, v67, v164
	v_fma_f32 v136, v40, v166, -v0
	v_mul_f32_e32 v0, v43, v167
	v_fmac_f32_e32 v46, v86, v146
	v_mul_f32_e32 v55, v69, v186
	v_fmac_f32_e32 v156, v66, v163
	v_fmac_f32_e32 v139, v40, v165
	v_fma_f32 v144, v42, v168, -v0
	v_mul_f32_e32 v0, v37, v173
	v_mul_f32_e32 v42, v77, v192
	v_fmac_f32_e32 v55, v68, v185
	v_fmac_f32_e32 v140, v36, v173
	v_sub_f32_e32 v3, v143, v144
	v_fma_f32 v137, v36, v174, -v0
	v_mul_f32_e32 v0, v39, v175
	v_fmac_f32_e32 v42, v76, v191
	v_mul_f32_e32 v141, v249, v182
	v_mul_f32_e32 v43, v73, v196
	v_mul_f32_e32 v54, v79, v170
	v_fma_f32 v145, v38, v176, -v0
	v_mul_f32_e32 v0, v249, v181
	v_fmac_f32_e32 v141, v248, v181
	v_fmac_f32_e32 v43, v72, v195
	;; [unrolled: 1-line block ×3, first 2 shown]
	v_mul_f32_e32 v36, v85, v184
	v_fma_f32 v80, v248, v182, -v0
	v_mul_f32_e32 v0, v85, v183
	v_sub_f32_e32 v81, v131, v136
	v_mul_f32_e32 v40, v221, v188
	v_fmac_f32_e32 v36, v84, v183
	v_fma_f32 v37, v84, v184, -v0
	v_mul_f32_e32 v0, v87, v146
	v_sub_f32_e32 v84, v80, v137
	v_fmac_f32_e32 v40, v220, v187
	v_fma_f32 v44, v86, v147, -v0
	v_mul_f32_e32 v0, v221, v187
	v_add_f32_e32 v81, v81, v84
	v_sub_f32_e32 v84, v136, v131
	v_fma_f32 v38, v220, v188, -v0
	v_mul_f32_e32 v0, v223, v154
	v_mul_f32_e32 v154, v71, v149
	v_fma_f32 v45, v222, v155, -v0
	v_mul_f32_e32 v0, v77, v191
	v_fmac_f32_e32 v154, v70, v148
	v_sub_f32_e32 v77, v141, v140
	v_fma_f32 v39, v76, v192, -v0
	v_mul_f32_e32 v0, v79, v169
	v_mul_f32_e32 v76, v75, v178
	v_sub_f32_e32 v79, v139, v140
	v_fma_f32 v47, v78, v170, -v0
	v_mul_f32_e32 v0, v73, v195
	v_fmac_f32_e32 v76, v74, v177
	v_sub_f32_e32 v73, v138, v139
	v_sub_f32_e32 v78, v140, v141
	v_fma_f32 v41, v72, v196, -v0
	v_mul_f32_e32 v0, v75, v177
	v_sub_f32_e32 v72, v136, v137
	v_add_f32_e32 v73, v73, v77
	v_sub_f32_e32 v77, v139, v138
	v_mul_f32_e32 v75, v229, v200
	v_fma_f32 v53, v74, v178, -v0
	v_mul_f32_e32 v0, v229, v199
	v_add_f32_e32 v77, v77, v78
	v_fmac_f32_e32 v75, v228, v199
	v_fma_f32 v74, v228, v200, -v0
	v_mul_f32_e32 v0, v69, v185
	v_sub_f32_e32 v69, v145, v144
	v_fma_f32 v146, v68, v186, -v0
	v_mul_f32_e32 v0, v71, v148
	v_sub_f32_e32 v68, v142, v143
	v_sub_f32_e32 v71, v144, v145
	v_fma_f32 v152, v70, v149, -v0
	v_mul_f32_e32 v0, v65, v189
	v_mul_f32_e32 v149, v65, v190
	v_sub_f32_e32 v65, v160, v159
	v_add_f32_e32 v68, v68, v69
	v_sub_f32_e32 v70, v143, v142
	v_fma_f32 v147, v64, v190, -v0
	v_mul_f32_e32 v0, v67, v163
	v_fmac_f32_e32 v149, v64, v189
	v_sub_f32_e32 v64, v162, v161
	v_add_f32_e32 v70, v70, v71
	v_fma_f32 v153, v66, v164, -v0
	v_mul_f32_e32 v0, v61, v193
	v_sub_f32_e32 v66, v161, v162
	v_fma_f32 v148, v60, v194, -v0
	v_mul_f32_e32 v0, v63, v171
	v_sub_f32_e32 v63, v159, v160
	v_add_f32_e32 v65, v65, v66
	v_fma_f32 v155, v62, v172, -v0
	v_mul_f32_e32 v0, v57, v197
	v_add_f32_e32 v63, v63, v64
	v_fma_f32 v56, v56, v198, -v0
	v_mul_f32_e32 v0, v59, v179
	v_mul_f32_e32 v59, v225, v202
	v_fma_f32 v57, v58, v180, -v0
	v_mul_f32_e32 v0, v225, v201
	v_fmac_f32_e32 v59, v224, v201
	v_fma_f32 v58, v224, v202, -v0
	v_add_f32_e32 v0, v132, v159
	v_add_f32_e32 v0, v0, v160
	;; [unrolled: 1-line block ×5, first 2 shown]
	v_fma_f32 v60, -0.5, v0, v132
	v_sub_f32_e32 v0, v142, v145
	v_fmamk_f32 v62, v0, 0xbf737871, v60
	v_fmac_f32_e32 v60, 0x3f737871, v0
	v_fmac_f32_e32 v62, 0xbf167918, v3
	;; [unrolled: 1-line block ×5, first 2 shown]
	v_add_f32_e32 v63, v159, v162
	v_fma_f32 v63, -0.5, v63, v132
	v_fmamk_f32 v64, v3, 0x3f737871, v63
	v_fmac_f32_e32 v63, 0xbf737871, v3
	v_sub_f32_e32 v3, v160, v161
	v_fmac_f32_e32 v64, 0xbf167918, v0
	v_fmac_f32_e32 v63, 0x3f167918, v0
	v_add_f32_e32 v0, v133, v142
	v_fmac_f32_e32 v64, 0x3e9e377a, v65
	v_fmac_f32_e32 v63, 0x3e9e377a, v65
	v_add_f32_e32 v0, v0, v143
	v_add_f32_e32 v0, v0, v144
	;; [unrolled: 1-line block ×4, first 2 shown]
	v_fma_f32 v65, -0.5, v0, v133
	v_sub_f32_e32 v0, v159, v162
	v_fmamk_f32 v67, v0, 0x3f737871, v65
	v_fmac_f32_e32 v65, 0xbf737871, v0
	v_fmac_f32_e32 v67, 0x3f167918, v3
	;; [unrolled: 1-line block ×5, first 2 shown]
	v_add_f32_e32 v68, v142, v145
	v_fma_f32 v68, -0.5, v68, v133
	v_fmamk_f32 v69, v3, 0xbf737871, v68
	v_fmac_f32_e32 v68, 0x3f737871, v3
	v_add_f32_e32 v3, v139, v140
	v_fmac_f32_e32 v69, 0x3f167918, v0
	v_fmac_f32_e32 v68, 0xbf167918, v0
	v_fma_f32 v3, -0.5, v3, v82
	v_add_f32_e32 v0, v82, v138
	v_fmac_f32_e32 v69, 0x3e9e377a, v70
	v_fmac_f32_e32 v68, 0x3e9e377a, v70
	v_sub_f32_e32 v70, v131, v80
	v_add_f32_e32 v0, v0, v139
	v_fmamk_f32 v71, v70, 0xbf737871, v3
	v_fmac_f32_e32 v3, 0x3f737871, v70
	v_add_f32_e32 v0, v0, v140
	v_fmac_f32_e32 v71, 0xbf167918, v72
	v_fmac_f32_e32 v3, 0x3f167918, v72
	v_add_f32_e32 v0, v0, v141
	v_fmac_f32_e32 v71, 0x3e9e377a, v73
	v_fmac_f32_e32 v3, 0x3e9e377a, v73
	v_add_f32_e32 v73, v138, v141
	v_add_f32_e32 v140, v61, v0
	v_sub_f32_e32 v132, v61, v0
	v_add_f32_e32 v0, v134, v46
	v_fmac_f32_e32 v82, -0.5, v73
	v_add_f32_e32 v0, v0, v52
	v_fmamk_f32 v73, v72, 0x3f737871, v82
	v_fmac_f32_e32 v82, 0xbf737871, v72
	v_add_f32_e32 v72, v136, v137
	v_add_f32_e32 v0, v0, v54
	v_fmac_f32_e32 v73, 0xbf167918, v70
	v_fmac_f32_e32 v82, 0x3f167918, v70
	v_add_f32_e32 v70, v130, v131
	v_add_f32_e32 v0, v0, v76
	v_fmac_f32_e32 v73, 0x3e9e377a, v77
	v_fmac_f32_e32 v82, 0x3e9e377a, v77
	v_fma_f32 v77, -0.5, v72, v130
	v_sub_f32_e32 v72, v138, v141
	v_add_f32_e32 v70, v70, v136
	v_fmamk_f32 v78, v72, 0x3f737871, v77
	v_fmac_f32_e32 v77, 0xbf737871, v72
	v_add_f32_e32 v70, v70, v137
	v_fmac_f32_e32 v78, 0x3f167918, v79
	v_fmac_f32_e32 v77, 0xbf167918, v79
	v_add_f32_e32 v70, v70, v80
	v_fmac_f32_e32 v78, 0x3e9e377a, v81
	v_fmac_f32_e32 v77, 0x3e9e377a, v81
	v_add_f32_e32 v81, v131, v80
	v_sub_f32_e32 v80, v137, v80
	v_add_f32_e32 v141, v66, v70
	v_sub_f32_e32 v133, v66, v70
	v_mul_f32_e32 v85, 0xbf167918, v77
	v_fmac_f32_e32 v130, -0.5, v81
	v_add_f32_e32 v80, v84, v80
	v_mul_f32_e32 v77, 0xbf4f1bbd, v77
	v_fmac_f32_e32 v85, 0xbf4f1bbd, v3
	v_fmamk_f32 v81, v79, 0xbf737871, v130
	v_fmac_f32_e32 v130, 0x3f737871, v79
	v_mul_f32_e32 v79, 0xbf167918, v78
	v_fmac_f32_e32 v77, 0x3f167918, v3
	v_add_f32_e32 v3, v52, v54
	v_fmac_f32_e32 v81, 0x3f167918, v72
	v_fmac_f32_e32 v130, 0xbf167918, v72
	;; [unrolled: 1-line block ×3, first 2 shown]
	v_add_f32_e32 v72, v60, v85
	v_mul_f32_e32 v78, 0x3f4f1bbd, v78
	v_fmac_f32_e32 v81, 0x3e9e377a, v80
	v_fmac_f32_e32 v130, 0x3e9e377a, v80
	v_fma_f32 v3, -0.5, v3, v134
	v_add_f32_e32 v142, v62, v79
	v_fmac_f32_e32 v78, 0x3f167918, v71
	v_mul_f32_e32 v80, 0xbf737871, v81
	v_mul_f32_e32 v84, 0xbf737871, v130
	;; [unrolled: 1-line block ×4, first 2 shown]
	v_sub_f32_e32 v86, v62, v79
	v_fmac_f32_e32 v80, 0x3e9e377a, v73
	v_fmac_f32_e32 v84, 0xbe9e377a, v82
	v_sub_f32_e32 v62, v45, v47
	v_add_f32_e32 v143, v67, v78
	v_sub_f32_e32 v87, v67, v78
	v_add_f32_e32 v136, v64, v80
	v_add_f32_e32 v138, v63, v84
	v_sub_f32_e32 v144, v63, v84
	v_sub_f32_e32 v84, v60, v85
	;; [unrolled: 1-line block ×6, first 2 shown]
	v_fmac_f32_e32 v71, 0x3f737871, v73
	v_fmamk_f32 v61, v60, 0xbf737871, v3
	v_fmac_f32_e32 v3, 0x3f737871, v60
	v_fmac_f32_e32 v81, 0x3f737871, v82
	v_add_f32_e32 v63, v63, v64
	v_add_f32_e32 v137, v69, v71
	v_fmac_f32_e32 v61, 0xbf167918, v62
	v_fmac_f32_e32 v3, 0x3f167918, v62
	v_sub_f32_e32 v131, v69, v71
	v_sub_f32_e32 v64, v52, v46
	v_add_f32_e32 v73, v65, v77
	v_fmac_f32_e32 v61, 0x3e9e377a, v63
	v_fmac_f32_e32 v3, 0x3e9e377a, v63
	v_add_f32_e32 v63, v46, v76
	v_sub_f32_e32 v46, v46, v76
	v_sub_f32_e32 v85, v65, v77
	;; [unrolled: 1-line block ×4, first 2 shown]
	v_fma_f32 v63, -0.5, v63, v134
	v_sub_f32_e32 v54, v44, v45
	v_add_f32_e32 v139, v68, v81
	v_add_f32_e32 v64, v64, v65
	v_sub_f32_e32 v145, v68, v81
	v_fmamk_f32 v67, v62, 0x3f737871, v63
	v_fmac_f32_e32 v63, 0xbf737871, v62
	v_sub_f32_e32 v62, v43, v75
	v_fmac_f32_e32 v67, 0xbf167918, v60
	v_fmac_f32_e32 v63, 0x3f167918, v60
	v_add_f32_e32 v60, v135, v44
	v_fmac_f32_e32 v67, 0x3e9e377a, v64
	v_fmac_f32_e32 v63, 0x3e9e377a, v64
	v_add_f32_e32 v60, v60, v45
	v_add_f32_e32 v60, v60, v47
	;; [unrolled: 1-line block ×4, first 2 shown]
	v_fma_f32 v82, -0.5, v60, v135
	v_sub_f32_e32 v60, v53, v47
	v_fmamk_f32 v134, v46, 0x3f737871, v82
	v_fmac_f32_e32 v82, 0xbf737871, v46
	v_add_f32_e32 v54, v54, v60
	v_sub_f32_e32 v60, v75, v43
	v_fmac_f32_e32 v134, 0x3f167918, v52
	v_fmac_f32_e32 v82, 0xbf167918, v52
	;; [unrolled: 1-line block ×4, first 2 shown]
	v_add_f32_e32 v54, v44, v53
	v_sub_f32_e32 v44, v45, v44
	v_sub_f32_e32 v45, v47, v53
	;; [unrolled: 1-line block ×3, first 2 shown]
	v_fmac_f32_e32 v135, -0.5, v54
	v_add_f32_e32 v44, v44, v45
	v_add_f32_e32 v45, v42, v43
	;; [unrolled: 1-line block ×3, first 2 shown]
	v_fmamk_f32 v54, v52, 0xbf737871, v135
	v_fmac_f32_e32 v135, 0x3f737871, v52
	v_sub_f32_e32 v52, v39, v41
	v_fma_f32 v45, -0.5, v45, v36
	v_sub_f32_e32 v60, v42, v40
	v_fmac_f32_e32 v54, 0x3f167918, v46
	v_fmac_f32_e32 v135, 0xbf167918, v46
	v_sub_f32_e32 v46, v38, v74
	v_add_f32_e32 v60, v60, v62
	v_fmac_f32_e32 v54, 0x3e9e377a, v44
	v_fmac_f32_e32 v135, 0x3e9e377a, v44
	v_fmamk_f32 v47, v46, 0xbf737871, v45
	v_fmac_f32_e32 v45, 0x3f737871, v46
	v_add_f32_e32 v44, v36, v40
	v_sub_f32_e32 v62, v74, v41
	v_fmac_f32_e32 v47, 0xbf167918, v52
	v_fmac_f32_e32 v45, 0x3f167918, v52
	v_add_f32_e32 v44, v44, v42
	v_sub_f32_e32 v42, v42, v43
	v_fmac_f32_e32 v47, 0x3e9e377a, v53
	v_fmac_f32_e32 v45, 0x3e9e377a, v53
	v_add_f32_e32 v53, v40, v75
	v_sub_f32_e32 v40, v40, v75
	v_add_f32_e32 v44, v44, v43
	v_sub_f32_e32 v43, v38, v39
	v_fmac_f32_e32 v36, -0.5, v53
	v_add_f32_e32 v44, v44, v75
	v_add_f32_e32 v43, v43, v62
	v_fmamk_f32 v53, v52, 0x3f737871, v36
	v_fmac_f32_e32 v36, 0xbf737871, v52
	v_add_f32_e32 v52, v39, v41
	v_add_f32_e32 v78, v0, v44
	v_sub_f32_e32 v70, v0, v44
	v_fmac_f32_e32 v53, 0xbf167918, v46
	v_fmac_f32_e32 v36, 0x3f167918, v46
	v_fma_f32 v52, -0.5, v52, v37
	v_add_f32_e32 v46, v37, v38
	v_add_f32_e32 v0, v128, v154
	v_fmac_f32_e32 v53, 0x3e9e377a, v60
	v_fmac_f32_e32 v36, 0x3e9e377a, v60
	v_fmamk_f32 v60, v40, 0x3f737871, v52
	v_fmac_f32_e32 v52, 0xbf737871, v40
	v_add_f32_e32 v46, v46, v39
	v_sub_f32_e32 v44, v149, v150
	v_add_f32_e32 v0, v0, v156
	v_fmac_f32_e32 v60, 0x3f167918, v42
	v_fmac_f32_e32 v52, 0xbf167918, v42
	v_add_f32_e32 v46, v46, v41
	v_add_f32_e32 v0, v0, v157
	v_fmac_f32_e32 v60, 0x3e9e377a, v43
	v_fmac_f32_e32 v52, 0x3e9e377a, v43
	v_add_f32_e32 v43, v38, v74
	v_sub_f32_e32 v38, v39, v38
	v_sub_f32_e32 v39, v41, v74
	v_add_f32_e32 v46, v46, v74
	v_mul_f32_e32 v41, 0xbf167918, v52
	v_fmac_f32_e32 v37, -0.5, v43
	v_add_f32_e32 v0, v0, v158
	v_add_f32_e32 v38, v38, v39
	;; [unrolled: 1-line block ×3, first 2 shown]
	v_fmac_f32_e32 v41, 0xbf4f1bbd, v45
	v_fmamk_f32 v43, v42, 0xbf737871, v37
	v_fmac_f32_e32 v37, 0x3f737871, v42
	v_mul_f32_e32 v42, 0x3f4f1bbd, v60
	v_sub_f32_e32 v71, v69, v46
	v_add_f32_e32 v64, v3, v41
	v_fmac_f32_e32 v43, 0x3f167918, v40
	v_fmac_f32_e32 v37, 0xbf167918, v40
	v_sub_f32_e32 v62, v3, v41
	v_add_f32_e32 v3, v156, v157
	v_sub_f32_e32 v41, v157, v158
	v_fmac_f32_e32 v43, 0x3e9e377a, v38
	v_fmac_f32_e32 v37, 0x3e9e377a, v38
	v_mul_f32_e32 v38, 0xbf167918, v60
	v_fma_f32 v3, -0.5, v3, v128
	v_fmac_f32_e32 v42, 0x3f167918, v47
	v_mul_f32_e32 v39, 0xbf737871, v43
	v_mul_f32_e32 v40, 0xbf737871, v37
	v_mul_f32_e32 v37, 0xbe9e377a, v37
	v_fmac_f32_e32 v38, 0x3f4f1bbd, v47
	v_mul_f32_e32 v43, 0x3e9e377a, v43
	v_fmac_f32_e32 v39, 0x3e9e377a, v53
	v_fmac_f32_e32 v40, 0xbe9e377a, v36
	v_fmac_f32_e32 v37, 0x3f737871, v36
	v_mul_f32_e32 v36, 0xbf4f1bbd, v52
	v_add_f32_e32 v80, v61, v38
	v_add_f32_e32 v74, v67, v39
	;; [unrolled: 1-line block ×3, first 2 shown]
	v_sub_f32_e32 v60, v63, v40
	v_fmac_f32_e32 v36, 0x3f167918, v45
	v_add_f32_e32 v77, v135, v37
	v_sub_f32_e32 v66, v61, v38
	v_sub_f32_e32 v68, v67, v39
	;; [unrolled: 1-line block ×3, first 2 shown]
	v_add_f32_e32 v65, v82, v36
	v_sub_f32_e32 v63, v82, v36
	v_sub_f32_e32 v36, v152, v57
	;; [unrolled: 1-line block ×5, first 2 shown]
	v_fmac_f32_e32 v43, 0x3f737871, v53
	v_fmamk_f32 v37, v36, 0xbf737871, v3
	v_fmac_f32_e32 v3, 0x3f737871, v36
	v_add_f32_e32 v81, v134, v42
	v_add_f32_e32 v39, v39, v40
	;; [unrolled: 1-line block ×3, first 2 shown]
	v_fmac_f32_e32 v37, 0xbf167918, v38
	v_fmac_f32_e32 v3, 0x3f167918, v38
	v_sub_f32_e32 v69, v54, v43
	v_sub_f32_e32 v40, v156, v154
	;; [unrolled: 1-line block ×3, first 2 shown]
	v_fmac_f32_e32 v37, 0x3e9e377a, v39
	v_fmac_f32_e32 v3, 0x3e9e377a, v39
	v_add_f32_e32 v39, v154, v158
	v_add_f32_e32 v40, v40, v41
	v_sub_f32_e32 v41, v57, v155
	v_sub_f32_e32 v42, v148, v56
	;; [unrolled: 1-line block ×3, first 2 shown]
	v_fma_f32 v39, -0.5, v39, v128
	v_sub_f32_e32 v47, v151, v59
	v_sub_f32_e32 v52, v150, v151
	;; [unrolled: 1-line block ×3, first 2 shown]
	v_add_f32_e32 v44, v44, v46
	v_fmamk_f32 v43, v38, 0x3f737871, v39
	v_fmac_f32_e32 v39, 0xbf737871, v38
	v_sub_f32_e32 v38, v156, v157
	v_sub_f32_e32 v46, v150, v149
	;; [unrolled: 1-line block ×3, first 2 shown]
	v_fmac_f32_e32 v43, 0xbf167918, v36
	v_fmac_f32_e32 v39, 0x3f167918, v36
	v_add_f32_e32 v36, v129, v152
	v_add_f32_e32 v46, v46, v47
	;; [unrolled: 1-line block ×3, first 2 shown]
	v_fmac_f32_e32 v43, 0x3e9e377a, v40
	v_fmac_f32_e32 v39, 0x3e9e377a, v40
	v_add_f32_e32 v36, v36, v153
	v_sub_f32_e32 v40, v152, v153
	v_sub_f32_e32 v54, v148, v147
	v_add_f32_e32 v36, v36, v155
	v_add_f32_e32 v40, v40, v41
	v_sub_f32_e32 v41, v155, v57
	v_add_f32_e32 v45, v36, v57
	v_add_f32_e32 v36, v153, v155
	v_mov_b32_e32 v155, v6
	v_fma_f32 v82, -0.5, v36, v129
	v_sub_f32_e32 v36, v154, v158
	v_add_nc_u32_e32 v154, 0x1c00, v83
	v_fmamk_f32 v128, v36, 0x3f737871, v82
	v_fmac_f32_e32 v82, 0xbf737871, v36
	v_fmac_f32_e32 v128, 0x3f167918, v38
	;; [unrolled: 1-line block ×5, first 2 shown]
	v_add_f32_e32 v40, v152, v57
	v_fmac_f32_e32 v129, -0.5, v40
	v_sub_f32_e32 v40, v153, v152
	v_fmamk_f32 v134, v38, 0xbf737871, v129
	v_fmac_f32_e32 v129, 0x3f737871, v38
	v_add_f32_e32 v40, v40, v41
	v_add_f32_e32 v38, v150, v151
	v_fmac_f32_e32 v134, 0x3f167918, v36
	v_fmac_f32_e32 v129, 0xbf167918, v36
	v_add_f32_e32 v36, v55, v149
	v_fma_f32 v38, -0.5, v38, v55
	v_fmac_f32_e32 v134, 0x3e9e377a, v40
	v_fmac_f32_e32 v129, 0x3e9e377a, v40
	v_sub_f32_e32 v40, v147, v58
	v_add_f32_e32 v36, v36, v150
	v_fmamk_f32 v41, v40, 0xbf737871, v38
	v_fmac_f32_e32 v38, 0x3f737871, v40
	v_add_f32_e32 v36, v36, v151
	v_fmac_f32_e32 v41, 0xbf167918, v42
	v_fmac_f32_e32 v38, 0x3f167918, v42
	v_add_f32_e32 v36, v36, v59
	v_fmac_f32_e32 v41, 0x3e9e377a, v44
	v_fmac_f32_e32 v38, 0x3e9e377a, v44
	v_add_f32_e32 v44, v149, v59
	v_fmac_f32_e32 v55, -0.5, v44
	v_fmamk_f32 v44, v42, 0x3f737871, v55
	v_fmac_f32_e32 v55, 0xbf737871, v42
	v_fmac_f32_e32 v44, 0xbf167918, v40
	v_fmac_f32_e32 v55, 0x3f167918, v40
	v_add_f32_e32 v40, v146, v147
	v_fmac_f32_e32 v44, 0x3e9e377a, v46
	v_fmac_f32_e32 v55, 0x3e9e377a, v46
	v_add_f32_e32 v40, v40, v148
	v_add_f32_e32 v40, v40, v56
	;; [unrolled: 1-line block ×4, first 2 shown]
	v_sub_f32_e32 v56, v56, v58
	v_add_f32_e32 v57, v45, v47
	v_fma_f32 v42, -0.5, v40, v146
	v_sub_f32_e32 v40, v149, v59
	v_add_f32_e32 v54, v54, v56
	v_add_f32_e32 v56, v0, v36
	v_sub_f32_e32 v47, v45, v47
	v_fmamk_f32 v46, v40, 0x3f737871, v42
	v_fmac_f32_e32 v42, 0xbf737871, v40
	v_fmac_f32_e32 v46, 0x3f167918, v52
	v_fmac_f32_e32 v42, 0xbf167918, v52
	v_fmac_f32_e32 v46, 0x3e9e377a, v53
	v_fmac_f32_e32 v42, 0x3e9e377a, v53
	v_add_f32_e32 v53, v147, v58
	v_mul_f32_e32 v135, 0xbf167918, v46
	v_mul_f32_e32 v149, 0xbf167918, v42
	v_fmac_f32_e32 v146, -0.5, v53
	v_mul_f32_e32 v152, 0xbf4f1bbd, v42
	v_mul_f32_e32 v150, 0x3f4f1bbd, v46
	v_fmac_f32_e32 v135, 0x3f4f1bbd, v41
	v_fmac_f32_e32 v149, 0xbf4f1bbd, v38
	v_fmamk_f32 v53, v52, 0xbf737871, v146
	v_fmac_f32_e32 v146, 0x3f737871, v52
	v_fmac_f32_e32 v152, 0x3f167918, v38
	;; [unrolled: 1-line block ×3, first 2 shown]
	v_add_f32_e32 v58, v37, v135
	v_fmac_f32_e32 v53, 0x3f167918, v40
	v_fmac_f32_e32 v146, 0xbf167918, v40
	v_sub_f32_e32 v46, v0, v36
	v_sub_f32_e32 v42, v37, v135
	;; [unrolled: 1-line block ×3, first 2 shown]
	v_fmac_f32_e32 v53, 0x3e9e377a, v54
	v_fmac_f32_e32 v146, 0x3e9e377a, v54
	v_add_f32_e32 v40, v3, v149
	v_add_f32_e32 v59, v128, v150
	;; [unrolled: 1-line block ×3, first 2 shown]
	v_mul_f32_e32 v147, 0xbf737871, v53
	v_mul_f32_e32 v148, 0xbf737871, v146
	;; [unrolled: 1-line block ×4, first 2 shown]
	v_fmac_f32_e32 v147, 0x3e9e377a, v44
	v_fmac_f32_e32 v148, 0xbe9e377a, v55
	;; [unrolled: 1-line block ×4, first 2 shown]
	v_add_f32_e32 v52, v43, v147
	v_add_f32_e32 v54, v39, v148
	v_sub_f32_e32 v36, v39, v148
	v_sub_f32_e32 v37, v129, v146
	;; [unrolled: 1-line block ×3, first 2 shown]
	v_add_f32_e32 v53, v134, v151
	v_add_f32_e32 v55, v129, v146
	v_sub_f32_e32 v44, v43, v147
	v_sub_f32_e32 v43, v128, v150
	;; [unrolled: 1-line block ×3, first 2 shown]
	ds_write2_b64 v246, v[140:141], v[142:143] offset1:10
	ds_write2_b64 v246, v[136:137], v[138:139] offset0:20 offset1:30
	ds_write2_b64 v246, v[72:73], v[132:133] offset0:40 offset1:50
	ds_write2_b64 v246, v[86:87], v[130:131] offset0:60 offset1:70
	ds_write2_b64 v246, v[144:145], v[84:85] offset0:80 offset1:90
	ds_write2_b64 v247, v[78:79], v[80:81] offset1:10
	ds_write2_b64 v247, v[74:75], v[76:77] offset0:20 offset1:30
	ds_write2_b64 v247, v[64:65], v[70:71] offset0:40 offset1:50
	ds_write2_b64 v247, v[66:67], v[68:69] offset0:60 offset1:70
	ds_write2_b64 v247, v[60:61], v[62:63] offset0:80 offset1:90
	;; [unrolled: 5-line block ×3, first 2 shown]
	s_waitcnt lgkmcnt(0)
	s_barrier
	buffer_gl0_inv
	ds_read2_b64 v[36:39], v2 offset0:96 offset1:216
	ds_read2_b64 v[44:47], v83 offset1:120
	ds_read2_b64 v[57:60], v1 offset0:48 offset1:168
	ds_read2_b64 v[61:64], v206 offset0:16 offset1:136
	;; [unrolled: 1-line block ×12, first 2 shown]
	v_mov_b32_e32 v82, v4
	ds_read2_b64 v[144:147], v4 offset0:32 offset1:152
	v_mov_b32_e32 v152, v2
	v_mov_b32_e32 v150, v1
	;; [unrolled: 1-line block ×3, first 2 shown]
	s_waitcnt lgkmcnt(0)
	s_barrier
	buffer_gl0_inv
	v_mov_b32_e32 v148, v253
	v_mul_f32_e32 v0, v209, v38
	v_mul_f32_e32 v55, v211, v58
	;; [unrolled: 1-line block ×5, first 2 shown]
	v_fma_f32 v4, v208, v39, -v0
	v_mul_f32_e32 v0, v211, v57
	v_fmac_f32_e32 v55, v210, v57
	v_fma_f32 v6, v30, v60, -v2
	v_mul_f32_e32 v2, v21, v74
	v_mul_f32_e32 v21, v241, v77
	v_fma_f32 v57, v210, v58, -v0
	v_mul_f32_e32 v0, v213, v63
	v_fma_f32 v1, v28, v70, -v1
	v_fmac_f32_e32 v2, v20, v73
	v_fma_f32 v3, v20, v74, -v3
	v_mul_f32_e32 v7, v23, v68
	v_fma_f32 v53, v212, v64, -v0
	v_mul_f32_e32 v0, v215, v65
	v_mul_f32_e32 v20, v23, v67
	v_mul_f32_e32 v5, v31, v60
	v_fmac_f32_e32 v7, v22, v67
	v_mul_f32_e32 v52, v209, v39
	v_fma_f32 v58, v214, v66, -v0
	v_mul_f32_e32 v0, v243, v86
	v_fma_f32 v20, v22, v68, -v20
	v_mul_f32_e32 v22, v15, v129
	v_fmac_f32_e32 v5, v30, v59
	v_fmac_f32_e32 v52, v208, v38
	v_fma_f32 v54, v242, v87, -v0
	v_mul_f32_e32 v0, v29, v70
	v_fmac_f32_e32 v22, v14, v128
	v_mul_f32_e32 v29, v237, v80
	v_mul_f32_e32 v38, v213, v64
	v_mul_f32_e32 v56, v215, v66
	v_fmac_f32_e32 v0, v28, v69
	v_fma_f32 v28, v240, v78, -v21
	v_mul_f32_e32 v21, v13, v72
	v_mul_f32_e32 v13, v13, v71
	v_fmac_f32_e32 v29, v236, v79
	v_mul_f32_e32 v39, v243, v87
	v_mul_f32_e32 v23, v241, v78
	v_fmac_f32_e32 v21, v12, v71
	v_fma_f32 v12, v12, v72, -v13
	v_mul_f32_e32 v13, v15, v128
	v_mul_f32_e32 v15, v11, v133
	v_fmac_f32_e32 v38, v212, v63
	v_fmac_f32_e32 v56, v214, v65
	;; [unrolled: 1-line block ×3, first 2 shown]
	v_fma_f32 v14, v14, v129, -v13
	v_mul_f32_e32 v13, v9, v76
	v_mul_f32_e32 v9, v9, v75
	v_fmac_f32_e32 v15, v10, v132
	v_fmac_f32_e32 v23, v240, v77
	v_mul_f32_e32 v73, v33, v143
	v_fmac_f32_e32 v13, v8, v75
	v_fma_f32 v8, v8, v76, -v9
	v_mul_f32_e32 v9, v11, v132
	v_mul_f32_e32 v77, v35, v85
	v_add_f32_e32 v31, v57, v58
	v_fmac_f32_e32 v73, v32, v142
	v_mul_f32_e32 v70, v27, v131
	v_fma_f32 v11, v10, v133, -v9
	v_mul_f32_e32 v9, v237, v79
	v_mul_f32_e32 v10, v25, v136
	v_fmac_f32_e32 v77, v34, v84
	v_fma_f32 v31, -0.5, v31, v45
	v_fmac_f32_e32 v70, v26, v130
	v_fma_f32 v30, v236, v80, -v9
	v_mul_f32_e32 v9, v25, v137
	v_fma_f32 v10, v24, v137, -v10
	v_add_f32_e32 v25, v55, v56
	v_mul_f32_e32 v75, v51, v62
	v_mul_f32_e32 v69, v49, v139
	v_fmac_f32_e32 v9, v24, v136
	v_mul_f32_e32 v24, v27, v130
	v_fma_f32 v25, -0.5, v25, v44
	v_fmac_f32_e32 v75, v50, v61
	v_mul_f32_e32 v68, v17, v141
	v_mul_f32_e32 v17, v17, v140
	v_fma_f32 v72, v26, v131, -v24
	v_mul_f32_e32 v24, v233, v144
	v_sub_f32_e32 v26, v57, v58
	v_fmac_f32_e32 v68, v16, v140
	v_fma_f32 v16, v16, v141, -v17
	v_mul_f32_e32 v17, v19, v135
	v_fma_f32 v79, v232, v145, -v24
	v_mul_f32_e32 v24, v49, v138
	v_fmamk_f32 v27, v26, 0xbf5db3d7, v25
	v_fmac_f32_e32 v25, 0x3f5db3d7, v26
	v_add_f32_e32 v26, v45, v57
	v_fmac_f32_e32 v17, v18, v134
	v_fma_f32 v71, v48, v139, -v24
	v_mul_f32_e32 v24, v51, v61
	v_mul_f32_e32 v19, v19, v134
	v_add_f32_e32 v26, v26, v58
	v_fmac_f32_e32 v69, v48, v138
	v_mul_f32_e32 v80, v231, v147
	v_fma_f32 v76, v50, v62, -v24
	v_mul_f32_e32 v24, v33, v142
	v_fma_f32 v18, v18, v135, -v19
	v_mul_f32_e32 v19, v233, v145
	v_fmac_f32_e32 v80, v230, v146
	v_fma_f32 v74, v32, v143, -v24
	v_mul_f32_e32 v24, v35, v84
	v_sub_f32_e32 v32, v55, v56
	v_fmac_f32_e32 v19, v232, v144
	v_fma_f32 v78, v34, v85, -v24
	v_mul_f32_e32 v24, v231, v146
	v_add_f32_e32 v34, v38, v39
	v_fmamk_f32 v33, v32, 0x3f5db3d7, v31
	v_fmac_f32_e32 v31, 0xbf5db3d7, v32
	v_add_f32_e32 v32, v52, v38
	v_fma_f32 v81, v230, v147, -v24
	v_add_f32_e32 v24, v44, v55
	v_fmac_f32_e32 v52, -0.5, v34
	v_sub_f32_e32 v34, v53, v54
	v_add_f32_e32 v44, v53, v54
	v_sub_f32_e32 v38, v38, v39
	v_add_f32_e32 v32, v32, v39
	v_add_f32_e32 v24, v24, v56
	v_fmamk_f32 v35, v34, 0xbf5db3d7, v52
	v_fmac_f32_e32 v52, 0x3f5db3d7, v34
	v_add_f32_e32 v34, v4, v53
	v_fmac_f32_e32 v4, -0.5, v44
	v_add_f32_e32 v58, v24, v32
	v_sub_f32_e32 v66, v24, v32
	v_add_f32_e32 v24, v5, v7
	v_add_f32_e32 v34, v34, v54
	v_fmamk_f32 v39, v38, 0x3f5db3d7, v4
	v_fmac_f32_e32 v4, 0xbf5db3d7, v38
	v_fma_f32 v24, -0.5, v24, v46
	v_add_f32_e32 v59, v26, v34
	v_sub_f32_e32 v67, v26, v34
	v_mul_f32_e32 v44, 0xbf5db3d7, v4
	v_mul_f32_e32 v4, -0.5, v4
	v_mul_f32_e32 v38, 0xbf5db3d7, v39
	v_mul_f32_e32 v39, 0.5, v39
	v_fmac_f32_e32 v44, -0.5, v52
	v_fmac_f32_e32 v4, 0x3f5db3d7, v52
	v_fmac_f32_e32 v38, 0.5, v35
	v_fmac_f32_e32 v39, 0x3f5db3d7, v35
	v_add_f32_e32 v54, v25, v44
	v_sub_f32_e32 v64, v25, v44
	v_sub_f32_e32 v25, v6, v20
	v_add_f32_e32 v55, v31, v4
	v_sub_f32_e32 v65, v31, v4
	v_add_f32_e32 v4, v46, v5
	v_sub_f32_e32 v5, v5, v7
	v_fmamk_f32 v26, v25, 0xbf5db3d7, v24
	v_fmac_f32_e32 v24, 0x3f5db3d7, v25
	v_add_f32_e32 v25, v47, v6
	v_add_f32_e32 v6, v6, v20
	;; [unrolled: 1-line block ×6, first 2 shown]
	v_fmac_f32_e32 v47, -0.5, v6
	v_sub_f32_e32 v62, v27, v38
	v_add_f32_e32 v61, v33, v39
	v_sub_f32_e32 v63, v33, v39
	v_fmamk_f32 v6, v5, 0x3f5db3d7, v47
	v_fmac_f32_e32 v47, 0xbf5db3d7, v5
	v_add_f32_e32 v5, v0, v2
	v_fmac_f32_e32 v0, -0.5, v7
	v_sub_f32_e32 v7, v3, v28
	v_sub_f32_e32 v2, v2, v23
	v_add_f32_e32 v5, v5, v23
	v_fmamk_f32 v20, v7, 0xbf5db3d7, v0
	v_fmac_f32_e32 v0, 0x3f5db3d7, v7
	v_add_f32_e32 v7, v1, v3
	v_add_f32_e32 v3, v3, v28
	v_add_f32_e32 v52, v4, v5
	v_sub_f32_e32 v50, v4, v5
	v_add_f32_e32 v4, v14, v11
	v_add_f32_e32 v7, v7, v28
	v_fmac_f32_e32 v1, -0.5, v3
	v_sub_f32_e32 v5, v22, v15
	v_fma_f32 v4, -0.5, v4, v41
	v_add_f32_e32 v53, v25, v7
	v_fmamk_f32 v3, v2, 0x3f5db3d7, v1
	v_fmac_f32_e32 v1, 0xbf5db3d7, v2
	v_sub_f32_e32 v51, v25, v7
	v_add_f32_e32 v7, v13, v29
	v_mul_f32_e32 v2, 0xbf5db3d7, v3
	v_mul_f32_e32 v23, 0xbf5db3d7, v1
	v_mul_f32_e32 v1, -0.5, v1
	v_mul_f32_e32 v3, 0.5, v3
	v_fmac_f32_e32 v2, 0.5, v20
	v_fmac_f32_e32 v23, -0.5, v0
	v_fmac_f32_e32 v1, 0x3f5db3d7, v0
	v_fmac_f32_e32 v3, 0x3f5db3d7, v20
	v_add_f32_e32 v0, v40, v22
	v_add_f32_e32 v56, v26, v2
	v_sub_f32_e32 v38, v26, v2
	v_add_f32_e32 v49, v47, v1
	v_sub_f32_e32 v45, v47, v1
	;; [unrolled: 2-line block ×4, first 2 shown]
	v_fmamk_f32 v6, v5, 0x3f5db3d7, v4
	v_fma_f32 v1, -0.5, v1, v40
	v_fmac_f32_e32 v4, 0xbf5db3d7, v5
	v_add_f32_e32 v5, v21, v13
	v_fmac_f32_e32 v21, -0.5, v7
	v_sub_f32_e32 v7, v8, v30
	v_fmamk_f32 v3, v2, 0xbf5db3d7, v1
	v_fmac_f32_e32 v1, 0x3f5db3d7, v2
	v_add_f32_e32 v2, v41, v14
	v_add_f32_e32 v5, v5, v29
	;; [unrolled: 1-line block ×3, first 2 shown]
	v_sub_f32_e32 v44, v24, v23
	v_add_f32_e32 v0, v0, v15
	v_add_f32_e32 v2, v2, v11
	v_fmamk_f32 v11, v7, 0xbf5db3d7, v21
	v_fmac_f32_e32 v21, 0x3f5db3d7, v7
	v_add_f32_e32 v7, v12, v8
	v_add_f32_e32 v8, v8, v30
	;; [unrolled: 1-line block ×4, first 2 shown]
	v_fmac_f32_e32 v12, -0.5, v8
	v_sub_f32_e32 v8, v13, v29
	v_sub_f32_e32 v30, v0, v5
	v_add_f32_e32 v0, v42, v70
	v_add_f32_e32 v33, v2, v7
	v_sub_f32_e32 v31, v2, v7
	v_fmamk_f32 v13, v8, 0x3f5db3d7, v12
	v_fmac_f32_e32 v12, 0xbf5db3d7, v8
	v_sub_f32_e32 v2, v72, v18
	v_add_f32_e32 v0, v0, v17
	v_mul_f32_e32 v8, 0xbf5db3d7, v13
	v_mul_f32_e32 v14, 0xbf5db3d7, v12
	v_mul_f32_e32 v13, 0.5, v13
	v_fmac_f32_e32 v8, 0.5, v11
	v_fmac_f32_e32 v14, -0.5, v21
	v_fmac_f32_e32 v13, 0x3f5db3d7, v11
	v_mul_f32_e32 v11, -0.5, v12
	v_add_f32_e32 v34, v3, v8
	v_add_f32_e32 v28, v1, v14
	v_sub_f32_e32 v26, v1, v14
	v_fmac_f32_e32 v11, 0x3f5db3d7, v21
	v_add_f32_e32 v1, v70, v17
	v_add_f32_e32 v35, v6, v13
	v_sub_f32_e32 v24, v3, v8
	v_sub_f32_e32 v25, v6, v13
	v_add_f32_e32 v29, v4, v11
	v_sub_f32_e32 v27, v4, v11
	v_fma_f32 v1, -0.5, v1, v42
	v_add_f32_e32 v4, v72, v18
	v_add_f32_e32 v6, v68, v19
	;; [unrolled: 1-line block ×3, first 2 shown]
	v_fmamk_f32 v3, v2, 0xbf5db3d7, v1
	v_fmac_f32_e32 v1, 0x3f5db3d7, v2
	v_add_f32_e32 v2, v43, v72
	v_fmac_f32_e32 v43, -0.5, v4
	v_sub_f32_e32 v4, v70, v17
	v_add_f32_e32 v2, v2, v18
	v_fmamk_f32 v5, v4, 0x3f5db3d7, v43
	v_fmac_f32_e32 v43, 0xbf5db3d7, v4
	v_add_f32_e32 v4, v9, v68
	v_fmac_f32_e32 v9, -0.5, v6
	v_sub_f32_e32 v6, v16, v79
	v_add_f32_e32 v4, v4, v19
	;; [unrolled: 6-line block ×3, first 2 shown]
	v_sub_f32_e32 v18, v0, v4
	v_add_f32_e32 v6, v6, v79
	v_add_f32_e32 v4, v73, v80
	v_fmamk_f32 v11, v8, 0x3f5db3d7, v10
	v_fmac_f32_e32 v10, 0xbf5db3d7, v8
	v_add_f32_e32 v0, v36, v75
	v_add_f32_e32 v21, v2, v6
	v_sub_f32_e32 v19, v2, v6
	v_mul_f32_e32 v8, 0xbf5db3d7, v11
	v_mul_f32_e32 v13, 0xbf5db3d7, v10
	v_mul_f32_e32 v11, 0.5, v11
	v_sub_f32_e32 v2, v76, v78
	v_add_f32_e32 v0, v0, v77
	v_fmac_f32_e32 v8, 0.5, v7
	v_fmac_f32_e32 v13, -0.5, v9
	v_fmac_f32_e32 v11, 0x3f5db3d7, v7
	v_mul_f32_e32 v7, -0.5, v10
	v_add_f32_e32 v22, v3, v8
	v_add_f32_e32 v16, v1, v13
	v_sub_f32_e32 v14, v1, v13
	v_add_f32_e32 v1, v75, v77
	v_fmac_f32_e32 v7, 0x3f5db3d7, v9
	v_sub_f32_e32 v12, v3, v8
	v_add_f32_e32 v23, v5, v11
	v_sub_f32_e32 v13, v5, v11
	v_fma_f32 v1, -0.5, v1, v36
	v_add_f32_e32 v17, v43, v7
	v_sub_f32_e32 v15, v43, v7
	v_fmamk_f32 v3, v2, 0xbf5db3d7, v1
	v_fmac_f32_e32 v1, 0x3f5db3d7, v2
	v_add_f32_e32 v2, v37, v76
	v_add_f32_e32 v7, v2, v78
	;; [unrolled: 1-line block ×3, first 2 shown]
	v_fmac_f32_e32 v37, -0.5, v2
	v_sub_f32_e32 v2, v75, v77
	v_fmamk_f32 v36, v2, 0x3f5db3d7, v37
	v_fmac_f32_e32 v37, 0xbf5db3d7, v2
	v_add_f32_e32 v2, v69, v73
	v_fmac_f32_e32 v69, -0.5, v4
	v_sub_f32_e32 v4, v74, v81
	v_add_f32_e32 v2, v2, v80
	v_fmamk_f32 v5, v4, 0xbf5db3d7, v69
	v_fmac_f32_e32 v69, 0x3f5db3d7, v4
	v_add_f32_e32 v4, v71, v74
	v_add_f32_e32 v8, v0, v2
	;; [unrolled: 1-line block ×5, first 2 shown]
	v_fmac_f32_e32 v71, -0.5, v4
	v_sub_f32_e32 v4, v73, v80
	v_sub_f32_e32 v7, v7, v40
	v_fmamk_f32 v6, v4, 0x3f5db3d7, v71
	v_fmac_f32_e32 v71, 0xbf5db3d7, v4
	v_mul_f32_e32 v43, 0.5, v6
	v_mul_f32_e32 v42, 0xbf5db3d7, v71
	v_mul_f32_e32 v41, 0xbf5db3d7, v6
	v_sub_f32_e32 v6, v0, v2
	v_mul_f32_e32 v46, -0.5, v71
	v_fmac_f32_e32 v43, 0x3f5db3d7, v5
	v_fmac_f32_e32 v42, -0.5, v69
	v_fmac_f32_e32 v41, 0.5, v5
	v_fmac_f32_e32 v46, 0x3f5db3d7, v69
	v_add_f32_e32 v11, v36, v43
	v_add_f32_e32 v4, v1, v42
	v_sub_f32_e32 v2, v1, v42
	v_sub_f32_e32 v1, v36, v43
	buffer_load_dword v36, off, s[20:23], 0 offset:236 ; 4-byte Folded Reload
	v_add_f32_e32 v10, v3, v41
	v_add_f32_e32 v5, v37, v46
	v_sub_f32_e32 v0, v3, v41
	v_sub_f32_e32 v3, v37, v46
	s_waitcnt vmcnt(0)
	ds_write2_b64 v36, v[58:59], v[60:61] offset1:100
	buffer_load_dword v36, off, s[20:23], 0 offset:220 ; 4-byte Folded Reload
	s_waitcnt vmcnt(0)
	ds_write2_b64 v36, v[54:55], v[66:67] offset0:72 offset1:172
	buffer_load_dword v36, off, s[20:23], 0 offset:224 ; 4-byte Folded Reload
	s_waitcnt vmcnt(0)
	ds_write2_b64 v36, v[62:63], v[64:65] offset0:144 offset1:244
	buffer_load_dword v36, off, s[20:23], 0 offset:240 ; 4-byte Folded Reload
	s_waitcnt vmcnt(0)
	ds_write2_b64 v36, v[52:53], v[56:57] offset1:100
	buffer_load_dword v36, off, s[20:23], 0 offset:232 ; 4-byte Folded Reload
	s_waitcnt vmcnt(0)
	ds_write2_b64 v36, v[48:49], v[50:51] offset0:72 offset1:172
	buffer_load_dword v36, off, s[20:23], 0 offset:228 ; 4-byte Folded Reload
	s_waitcnt vmcnt(0)
	ds_write2_b64 v36, v[38:39], v[44:45] offset0:144 offset1:244
	buffer_load_dword v36, off, s[20:23], 0 offset:260 ; 4-byte Folded Reload
	;; [unrolled: 9-line block ×4, first 2 shown]
	s_waitcnt vmcnt(0)
	ds_write2_b64 v12, v[8:9], v[10:11] offset1:100
	buffer_load_dword v8, off, s[20:23], 0 offset:264 ; 4-byte Folded Reload
	s_waitcnt vmcnt(0)
	ds_write2_b64 v8, v[4:5], v[6:7] offset0:72 offset1:172
	buffer_load_dword v4, off, s[20:23], 0 offset:268 ; 4-byte Folded Reload
	s_waitcnt vmcnt(0)
	ds_write2_b64 v4, v[0:1], v[2:3] offset0:144 offset1:244
	s_waitcnt lgkmcnt(0)
	s_barrier
	buffer_gl0_inv
	ds_read2_b64 v[8:11], v83 offset1:120
	ds_read2_b64 v[0:3], v152 offset0:96 offset1:216
	ds_read2_b64 v[13:16], v150 offset0:48 offset1:168
	;; [unrolled: 1-line block ×14, first 2 shown]
	s_waitcnt lgkmcnt(13)
	v_mul_f32_e32 v20, v93, v3
	s_waitcnt lgkmcnt(12)
	v_mul_f32_e32 v32, v95, v14
	v_mul_f32_e32 v12, v99, v15
	s_waitcnt lgkmcnt(10)
	v_mul_f32_e32 v34, v91, v23
	s_waitcnt lgkmcnt(9)
	v_mul_f32_e32 v30, v219, v45
	v_fmac_f32_e32 v20, v92, v2
	v_mul_f32_e32 v2, v93, v2
	v_mul_f32_e32 v26, v89, v39
	v_fmac_f32_e32 v34, v90, v22
	v_fmac_f32_e32 v30, v218, v44
	v_mul_f32_e32 v17, v115, v24
	v_fma_f32 v21, v92, v3, -v2
	v_mul_f32_e32 v2, v95, v13
	v_fmac_f32_e32 v26, v88, v38
	s_waitcnt lgkmcnt(4)
	v_mul_f32_e32 v65, v111, v63
	v_fma_f32 v17, v114, v25, -v17
	s_waitcnt lgkmcnt(2)
	v_mul_f32_e32 v64, v125, v74
	v_fma_f32 v33, v94, v14, -v2
	v_mul_f32_e32 v2, v89, v38
	v_mul_f32_e32 v14, v99, v16
	;; [unrolled: 1-line block ×3, first 2 shown]
	v_fmac_f32_e32 v65, v110, v62
	v_fmac_f32_e32 v64, v124, v73
	v_fma_f32 v27, v88, v39, -v2
	v_mul_f32_e32 v2, v91, v22
	v_fmac_f32_e32 v14, v98, v15
	v_fma_f32 v15, v98, v16, -v12
	v_mul_f32_e32 v16, v115, v25
	v_mul_f32_e32 v22, v107, v60
	v_fma_f32 v35, v90, v23, -v2
	v_mul_f32_e32 v2, v219, v44
	v_mul_f32_e32 v44, v109, v71
	v_fmac_f32_e32 v16, v114, v24
	v_mul_f32_e32 v24, v107, v61
	v_fma_f32 v25, v106, v61, -v22
	v_fmac_f32_e32 v38, v102, v67
	v_fma_f32 v61, v108, v72, -v44
	v_mul_f32_e32 v44, v111, v62
	v_mul_f32_e32 v39, v103, v67
	v_fmac_f32_e32 v24, v106, v60
	v_mul_f32_e32 v60, v109, v72
	v_mul_f32_e32 v72, v127, v37
	v_fma_f32 v67, v110, v63, -v44
	s_waitcnt lgkmcnt(1)
	v_mul_f32_e32 v44, v117, v76
	v_fma_f32 v39, v102, v68, -v39
	v_mul_f32_e32 v68, v119, v70
	v_fmac_f32_e32 v72, v126, v36
	v_mul_f32_e32 v36, v127, v36
	v_fma_f32 v63, v116, v77, -v44
	v_mul_f32_e32 v44, v119, v69
	v_fmac_f32_e32 v68, v118, v69
	v_mul_f32_e32 v62, v117, v77
	v_fmac_f32_e32 v32, v94, v13
	v_fmac_f32_e32 v60, v108, v71
	v_fma_f32 v69, v118, v70, -v44
	s_waitcnt lgkmcnt(0)
	v_mul_f32_e32 v44, v235, v84
	v_mul_f32_e32 v70, v121, v79
	v_fma_f32 v31, v218, v45, -v2
	v_mul_f32_e32 v2, v97, v47
	v_mul_f32_e32 v3, v97, v46
	v_fma_f32 v77, v234, v85, -v44
	v_mul_f32_e32 v44, v125, v73
	v_fma_f32 v73, v126, v37, -v36
	v_mul_f32_e32 v36, v121, v78
	v_add_f32_e32 v37, v32, v34
	v_fmac_f32_e32 v2, v96, v46
	v_fma_f32 v66, v124, v74, -v44
	v_mul_f32_e32 v74, v123, v43
	v_fma_f32 v71, v120, v79, -v36
	v_mul_f32_e32 v36, v123, v42
	v_mul_f32_e32 v13, v113, v50
	;; [unrolled: 1-line block ×3, first 2 shown]
	v_fmac_f32_e32 v74, v122, v42
	v_mul_f32_e32 v28, v227, v55
	v_fma_f32 v75, v122, v43, -v36
	v_mul_f32_e32 v36, v217, v86
	v_fma_f32 v13, v112, v51, -v13
	v_fmac_f32_e32 v12, v112, v50
	v_fmac_f32_e32 v28, v226, v54
	v_mul_f32_e32 v18, v227, v54
	v_fma_f32 v79, v216, v87, -v36
	v_add_f32_e32 v36, v8, v32
	v_fma_f32 v8, -0.5, v37, v8
	v_sub_f32_e32 v37, v33, v35
	v_sub_f32_e32 v32, v32, v34
	v_fma_f32 v29, v226, v55, -v18
	v_add_f32_e32 v36, v36, v34
	v_fma_f32 v3, v96, v47, -v3
	v_fmamk_f32 v42, v37, 0xbf5db3d7, v8
	v_fmac_f32_e32 v8, 0x3f5db3d7, v37
	v_add_f32_e32 v37, v9, v33
	v_add_f32_e32 v33, v33, v35
	v_mul_f32_e32 v22, v101, v53
	v_mul_f32_e32 v40, v239, v57
	;; [unrolled: 1-line block ×3, first 2 shown]
	v_add_f32_e32 v37, v37, v35
	v_fma_f32 v9, -0.5, v33, v9
	v_fmac_f32_e32 v22, v100, v52
	v_mul_f32_e32 v23, v101, v52
	v_fmac_f32_e32 v40, v238, v56
	v_mul_f32_e32 v41, v239, v56
	v_fmamk_f32 v43, v32, 0x3f5db3d7, v9
	v_fmac_f32_e32 v9, 0xbf5db3d7, v32
	v_add_f32_e32 v32, v20, v26
	v_fmac_f32_e32 v18, v104, v48
	v_mul_f32_e32 v19, v105, v48
	v_fma_f32 v23, v100, v53, -v23
	v_fma_f32 v41, v238, v57, -v41
	v_add_f32_e32 v44, v32, v30
	v_add_f32_e32 v32, v26, v30
	v_sub_f32_e32 v26, v26, v30
	v_fma_f32 v19, v104, v49, -v19
	v_fmac_f32_e32 v62, v116, v76
	v_sub_f32_e32 v50, v36, v44
	v_fmac_f32_e32 v20, -0.5, v32
	v_sub_f32_e32 v32, v27, v31
	v_mul_f32_e32 v76, v235, v85
	v_fmac_f32_e32 v70, v120, v78
	v_mul_f32_e32 v78, v217, v87
	v_fmamk_f32 v33, v32, 0xbf5db3d7, v20
	v_fmac_f32_e32 v20, 0x3f5db3d7, v32
	v_add_f32_e32 v32, v21, v27
	v_add_f32_e32 v27, v27, v31
	v_fmac_f32_e32 v76, v234, v84
	v_fmac_f32_e32 v78, v216, v86
	v_add_f32_e32 v45, v32, v31
	v_fmac_f32_e32 v21, -0.5, v27
	v_add_f32_e32 v27, v37, v45
	v_fmamk_f32 v30, v26, 0x3f5db3d7, v21
	v_fmac_f32_e32 v21, 0xbf5db3d7, v26
	v_sub_f32_e32 v51, v37, v45
	v_add_f32_e32 v26, v36, v44
	v_mul_f32_e32 v31, 0xbf5db3d7, v30
	v_mul_f32_e32 v46, 0xbf5db3d7, v21
	v_mul_f32_e32 v21, -0.5, v21
	v_mul_f32_e32 v30, 0.5, v30
	v_fmac_f32_e32 v31, 0.5, v33
	v_fmac_f32_e32 v46, -0.5, v20
	v_fmac_f32_e32 v21, 0x3f5db3d7, v20
	v_fmac_f32_e32 v30, 0x3f5db3d7, v33
	v_add_f32_e32 v34, v42, v31
	v_add_f32_e32 v32, v8, v46
	;; [unrolled: 1-line block ×3, first 2 shown]
	v_sub_f32_e32 v45, v9, v21
	v_add_f32_e32 v9, v14, v16
	v_sub_f32_e32 v44, v8, v46
	v_add_f32_e32 v8, v10, v14
	v_sub_f32_e32 v14, v14, v16
	v_sub_f32_e32 v48, v42, v31
	v_fma_f32 v9, -0.5, v9, v10
	v_sub_f32_e32 v10, v15, v17
	v_add_f32_e32 v8, v8, v16
	v_add_f32_e32 v16, v12, v28
	;; [unrolled: 1-line block ×3, first 2 shown]
	v_sub_f32_e32 v49, v43, v30
	v_fmamk_f32 v20, v10, 0xbf5db3d7, v9
	v_fmac_f32_e32 v9, 0x3f5db3d7, v10
	v_add_f32_e32 v10, v11, v15
	v_add_f32_e32 v15, v15, v17
	;; [unrolled: 1-line block ×3, first 2 shown]
	v_fmac_f32_e32 v11, -0.5, v15
	v_fmamk_f32 v15, v14, 0x3f5db3d7, v11
	v_fmac_f32_e32 v11, 0xbf5db3d7, v14
	v_add_f32_e32 v14, v2, v12
	v_fmac_f32_e32 v2, -0.5, v16
	v_sub_f32_e32 v16, v13, v29
	v_sub_f32_e32 v12, v12, v28
	v_add_f32_e32 v14, v14, v28
	v_fmamk_f32 v17, v16, 0xbf5db3d7, v2
	v_fmac_f32_e32 v2, 0x3f5db3d7, v16
	v_add_f32_e32 v16, v3, v13
	v_add_f32_e32 v13, v13, v29
	;; [unrolled: 1-line block ×3, first 2 shown]
	v_sub_f32_e32 v56, v8, v14
	v_add_f32_e32 v16, v16, v29
	v_fmac_f32_e32 v3, -0.5, v13
	v_add_f32_e32 v55, v10, v16
	v_fmamk_f32 v13, v12, 0x3f5db3d7, v3
	v_fmac_f32_e32 v3, 0xbf5db3d7, v12
	v_sub_f32_e32 v57, v10, v16
	v_mul_f32_e32 v12, 0xbf5db3d7, v13
	v_mul_f32_e32 v21, 0xbf5db3d7, v3
	v_mul_f32_e32 v3, -0.5, v3
	v_mul_f32_e32 v13, 0.5, v13
	v_fmac_f32_e32 v12, 0.5, v17
	v_fmac_f32_e32 v21, -0.5, v2
	v_fmac_f32_e32 v3, 0x3f5db3d7, v2
	v_add_f32_e32 v2, v4, v24
	v_fmac_f32_e32 v13, 0x3f5db3d7, v17
	v_add_f32_e32 v52, v20, v12
	v_add_f32_e32 v36, v9, v21
	v_add_f32_e32 v37, v11, v3
	v_sub_f32_e32 v29, v11, v3
	v_add_f32_e32 v3, v24, v38
	v_sub_f32_e32 v28, v9, v21
	v_add_f32_e32 v9, v25, v39
	v_add_f32_e32 v11, v22, v40
	;; [unrolled: 1-line block ×3, first 2 shown]
	v_fma_f32 v3, -0.5, v3, v4
	v_sub_f32_e32 v4, v25, v39
	v_sub_f32_e32 v31, v15, v13
	v_add_f32_e32 v13, v23, v41
	v_sub_f32_e32 v30, v20, v12
	v_add_f32_e32 v2, v2, v38
	v_fmamk_f32 v8, v4, 0xbf5db3d7, v3
	v_fmac_f32_e32 v3, 0x3f5db3d7, v4
	v_add_f32_e32 v4, v5, v25
	v_fma_f32 v5, -0.5, v9, v5
	v_sub_f32_e32 v9, v24, v38
	v_add_f32_e32 v4, v4, v39
	v_fmamk_f32 v10, v9, 0x3f5db3d7, v5
	v_fmac_f32_e32 v5, 0xbf5db3d7, v9
	v_add_f32_e32 v9, v18, v22
	v_fmac_f32_e32 v18, -0.5, v11
	v_sub_f32_e32 v11, v23, v41
	v_add_f32_e32 v9, v9, v40
	v_fmamk_f32 v12, v11, 0xbf5db3d7, v18
	v_fmac_f32_e32 v18, 0x3f5db3d7, v11
	v_add_f32_e32 v11, v19, v23
	v_fmac_f32_e32 v19, -0.5, v13
	v_sub_f32_e32 v13, v22, v40
	v_add_f32_e32 v24, v2, v9
	v_add_f32_e32 v11, v11, v41
	v_fmamk_f32 v14, v13, 0x3f5db3d7, v19
	v_fmac_f32_e32 v19, 0xbf5db3d7, v13
	v_add_f32_e32 v25, v4, v11
	v_mul_f32_e32 v13, 0xbf5db3d7, v14
	v_mul_f32_e32 v14, 0.5, v14
	v_mul_f32_e32 v16, -0.5, v19
	v_mul_f32_e32 v15, 0xbf5db3d7, v19
	v_fmac_f32_e32 v13, 0.5, v12
	v_fmac_f32_e32 v14, 0x3f5db3d7, v12
	v_sub_f32_e32 v12, v2, v9
	v_add_f32_e32 v2, v6, v65
	v_fmac_f32_e32 v16, 0x3f5db3d7, v18
	v_add_f32_e32 v58, v8, v13
	v_sub_f32_e32 v42, v8, v13
	v_sub_f32_e32 v13, v4, v11
	v_add_f32_e32 v4, v2, v68
	v_add_f32_e32 v2, v65, v68
	;; [unrolled: 1-line block ×3, first 2 shown]
	v_sub_f32_e32 v41, v5, v16
	v_add_f32_e32 v59, v10, v14
	v_sub_f32_e32 v43, v10, v14
	v_fma_f32 v5, -0.5, v2, v6
	v_sub_f32_e32 v2, v67, v69
	v_fmac_f32_e32 v15, -0.5, v18
	ds_write_b64 v83, v[34:35] offset:4800
	ds_write_b64 v83, v[32:33] offset:9600
	;; [unrolled: 1-line block ×5, first 2 shown]
	ds_write2_b64 v83, v[26:27], v[54:55] offset1:120
	ds_write_b64 v83, v[56:57] offset:15360
	ds_write2_b64 v203, v[52:53], v[58:59] offset0:80 offset1:200
	v_add_nc_u32_e32 v27, 0x2800, v83
	v_fmamk_f32 v6, v2, 0xbf5db3d7, v5
	v_fmac_f32_e32 v5, 0x3f5db3d7, v2
	v_add_f32_e32 v2, v7, v67
	v_add_f32_e32 v46, v3, v15
	v_sub_f32_e32 v40, v3, v15
	v_add_f32_e32 v8, v2, v69
	v_add_f32_e32 v2, v67, v69
	ds_write2_b64 v27, v[36:37], v[46:47] offset0:40 offset1:160
	v_add_nc_u32_e32 v27, 0x4c00, v83
	v_fmac_f32_e32 v7, -0.5, v2
	v_sub_f32_e32 v2, v65, v68
	v_fmamk_f32 v9, v2, 0x3f5db3d7, v7
	v_fmac_f32_e32 v7, 0xbf5db3d7, v2
	v_add_f32_e32 v2, v60, v62
	v_add_f32_e32 v10, v2, v76
	;; [unrolled: 1-line block ×4, first 2 shown]
	v_fmac_f32_e32 v60, -0.5, v2
	v_sub_f32_e32 v2, v63, v77
	v_sub_f32_e32 v22, v4, v10
	v_add_f32_e32 v4, v0, v72
	v_fmamk_f32 v3, v2, 0xbf5db3d7, v60
	v_fmac_f32_e32 v60, 0x3f5db3d7, v2
	v_add_f32_e32 v2, v61, v63
	v_add_f32_e32 v11, v2, v77
	;; [unrolled: 1-line block ×4, first 2 shown]
	v_fmac_f32_e32 v61, -0.5, v2
	v_sub_f32_e32 v2, v62, v76
	v_sub_f32_e32 v23, v8, v11
	v_fmamk_f32 v14, v2, 0x3f5db3d7, v61
	v_fmac_f32_e32 v61, 0xbf5db3d7, v2
	v_mul_f32_e32 v15, 0xbf5db3d7, v14
	v_mul_f32_e32 v19, -0.5, v61
	v_mul_f32_e32 v17, 0xbf5db3d7, v61
	v_mul_f32_e32 v18, 0.5, v14
	v_fmac_f32_e32 v15, 0.5, v3
	v_fmac_f32_e32 v19, 0x3f5db3d7, v60
	v_fmac_f32_e32 v17, -0.5, v60
	v_fmac_f32_e32 v18, 0x3f5db3d7, v3
	v_add_f32_e32 v2, v6, v15
	v_sub_f32_e32 v16, v6, v15
	v_add_f32_e32 v6, v4, v74
	v_add_f32_e32 v4, v72, v74
	;; [unrolled: 1-line block ×3, first 2 shown]
	v_sub_f32_e32 v15, v7, v19
	v_add_f32_e32 v20, v5, v17
	v_add_f32_e32 v3, v9, v18
	v_fma_f32 v0, -0.5, v4, v0
	v_sub_f32_e32 v4, v73, v75
	v_sub_f32_e32 v14, v5, v17
	;; [unrolled: 1-line block ×3, first 2 shown]
	ds_write2_b64 v27, v[30:31], v[42:43] offset0:88 offset1:208
	ds_write2_b64 v155, v[28:29], v[40:41] offset0:48 offset1:168
	;; [unrolled: 1-line block ×3, first 2 shown]
	ds_write_b64 v83, v[20:21] offset:12480
	v_add_nc_u32_e32 v20, 0x3c00, v83
	v_fmamk_f32 v7, v4, 0xbf5db3d7, v0
	v_fmac_f32_e32 v0, 0x3f5db3d7, v4
	v_add_f32_e32 v4, v1, v73
	v_add_f32_e32 v9, v4, v75
	;; [unrolled: 1-line block ×3, first 2 shown]
	v_fmac_f32_e32 v1, -0.5, v4
	v_sub_f32_e32 v4, v72, v74
	v_fmamk_f32 v60, v4, 0x3f5db3d7, v1
	v_fmac_f32_e32 v1, 0xbf5db3d7, v4
	v_add_f32_e32 v4, v64, v70
	v_add_f32_e32 v8, v4, v78
	;; [unrolled: 1-line block ×4, first 2 shown]
	v_fmac_f32_e32 v64, -0.5, v4
	v_sub_f32_e32 v4, v71, v79
	v_sub_f32_e32 v8, v6, v8
	v_fmamk_f32 v5, v4, 0xbf5db3d7, v64
	v_fmac_f32_e32 v64, 0x3f5db3d7, v4
	v_add_f32_e32 v4, v66, v71
	v_add_f32_e32 v61, v4, v79
	;; [unrolled: 1-line block ×4, first 2 shown]
	v_fmac_f32_e32 v66, -0.5, v4
	v_sub_f32_e32 v4, v70, v78
	v_sub_f32_e32 v9, v9, v61
	v_fmamk_f32 v11, v4, 0x3f5db3d7, v66
	v_fmac_f32_e32 v66, 0xbf5db3d7, v4
	v_mul_f32_e32 v62, 0xbf5db3d7, v11
	v_mul_f32_e32 v63, 0xbf5db3d7, v66
	v_mul_f32_e32 v65, 0.5, v11
	v_mul_f32_e32 v66, -0.5, v66
	v_fmac_f32_e32 v62, 0.5, v5
	v_fmac_f32_e32 v63, -0.5, v64
	v_fmac_f32_e32 v65, 0x3f5db3d7, v5
	v_fmac_f32_e32 v66, 0x3f5db3d7, v64
	v_add_f32_e32 v10, v7, v62
	v_add_f32_e32 v4, v0, v63
	;; [unrolled: 1-line block ×4, first 2 shown]
	v_sub_f32_e32 v1, v1, v66
	v_sub_f32_e32 v6, v7, v62
	;; [unrolled: 1-line block ×4, first 2 shown]
	ds_write2_b64 v20, v[12:13], v[22:23] offset0:120 offset1:240
	ds_write_b64 v83, v[16:17] offset:22080
	ds_write_b64 v83, v[14:15] offset:26880
	ds_write_b64 v83, v[18:19] offset:3840
	ds_write2_b64 v154, v[2:3], v[10:11] offset0:64 offset1:184
	ds_write_b64 v83, v[4:5] offset:13440
	ds_write_b64 v83, v[8:9] offset:18240
	;; [unrolled: 1-line block ×4, first 2 shown]
	s_waitcnt lgkmcnt(0)
	s_barrier
	buffer_gl0_inv
	ds_read2_b64 v[28:31], v83 offset1:120
	s_clause 0x2
	buffer_load_dword v1, off, s[20:23], 0 offset:172
	buffer_load_dword v2, off, s[20:23], 0 offset:176
	buffer_load_dword v4, off, s[20:23], 0 offset:212
	s_waitcnt vmcnt(1) lgkmcnt(0)
	v_mul_f32_e32 v0, v2, v29
	v_mov_b32_e32 v3, v2
	v_mov_b32_e32 v2, v1
	v_fmac_f32_e32 v0, v1, v28
	v_cvt_f64_f32_e32 v[0:1], v0
	v_mul_f64 v[0:1], v[0:1], s[2:3]
	v_cvt_f32_f64_e32 v0, v[0:1]
	v_mul_f32_e32 v1, v3, v28
	v_fma_f32 v1, v2, v29, -v1
	v_cvt_f64_f32_e32 v[1:2], v1
	v_mul_f64 v[1:2], v[1:2], s[2:3]
	v_cvt_f32_f64_e32 v1, v[1:2]
	s_waitcnt vmcnt(0)
	v_mad_u64_u32 v[2:3], null, s0, v4, 0
	v_mad_u64_u32 v[3:4], null, s1, v4, v[3:4]
	s_clause 0x1
	buffer_load_dword v4, off, s[20:23], 0 offset:164
	buffer_load_dword v5, off, s[20:23], 0 offset:168
	ds_read2_b64 v[16:19], v250 offset0:112 offset1:232
	v_lshlrev_b64 v[2:3], 3, v[2:3]
	s_waitcnt vmcnt(0)
	v_lshlrev_b64 v[4:5], 3, v[4:5]
	v_add_co_u32 v36, vcc_lo, s12, v4
	v_add_co_ci_u32_e32 v37, vcc_lo, s13, v5, vcc_lo
	v_add_co_u32 v2, vcc_lo, v36, v2
	v_add_co_ci_u32_e32 v3, vcc_lo, v37, v3, vcc_lo
	global_store_dwordx2 v[2:3], v[0:1], off
	s_clause 0x1
	buffer_load_dword v4, off, s[20:23], 0 offset:180
	buffer_load_dword v5, off, s[20:23], 0 offset:184
	v_add_co_u32 v2, vcc_lo, v2, s5
	v_add_co_ci_u32_e32 v3, vcc_lo, s4, v3, vcc_lo
	ds_read2_b64 v[26:29], v203 offset0:80 offset1:200
	s_waitcnt vmcnt(0) lgkmcnt(1)
	v_mul_f32_e32 v0, v5, v19
	v_fmac_f32_e32 v0, v4, v18
	v_cvt_f64_f32_e32 v[0:1], v0
	v_mul_f64 v[0:1], v[0:1], s[2:3]
	v_cvt_f32_f64_e32 v0, v[0:1]
	v_mul_f32_e32 v1, v5, v18
	v_fma_f32 v1, v4, v19, -v1
	v_cvt_f64_f32_e32 v[4:5], v1
	v_mul_f64 v[4:5], v[4:5], s[2:3]
	v_cvt_f32_f64_e32 v1, v[4:5]
	global_store_dwordx2 v[2:3], v[0:1], off
	s_clause 0x1
	buffer_load_dword v4, off, s[20:23], 0 offset:188
	buffer_load_dword v5, off, s[20:23], 0 offset:192
	v_add_co_u32 v2, vcc_lo, v2, s5
	v_add_co_ci_u32_e32 v3, vcc_lo, s4, v3, vcc_lo
	ds_read2_b64 v[12:15], v154 offset0:64 offset1:184
	s_waitcnt vmcnt(0) lgkmcnt(1)
	v_mul_f32_e32 v0, v5, v27
	v_fmac_f32_e32 v0, v4, v26
	v_cvt_f64_f32_e32 v[0:1], v0
	v_mul_f64 v[0:1], v[0:1], s[2:3]
	v_cvt_f32_f64_e32 v0, v[0:1]
	v_mul_f32_e32 v1, v5, v26
	v_fma_f32 v1, v4, v27, -v1
	v_cvt_f64_f32_e32 v[4:5], v1
	v_mul_f64 v[4:5], v[4:5], s[2:3]
	v_cvt_f32_f64_e32 v1, v[4:5]
	;; [unrolled: 18-line block ×5, first 2 shown]
	global_store_dwordx2 v[2:3], v[0:1], off
	s_clause 0x1
	buffer_load_dword v4, off, s[20:23], 0 offset:288
	buffer_load_dword v5, off, s[20:23], 0 offset:292
	v_add_co_u32 v2, vcc_lo, v2, s5
	v_add_co_ci_u32_e32 v3, vcc_lo, s4, v3, vcc_lo
	s_waitcnt vmcnt(0) lgkmcnt(0)
	v_mul_f32_e32 v0, v5, v21
	v_fmac_f32_e32 v0, v4, v20
	v_cvt_f64_f32_e32 v[0:1], v0
	v_mul_f64 v[0:1], v[0:1], s[2:3]
	v_cvt_f32_f64_e32 v0, v[0:1]
	v_mul_f32_e32 v1, v5, v20
	v_fma_f32 v1, v4, v21, -v1
	v_cvt_f64_f32_e32 v[4:5], v1
	v_mul_f64 v[4:5], v[4:5], s[2:3]
	v_cvt_f32_f64_e32 v1, v[4:5]
	ds_read2_b64 v[4:7], v252 offset0:96 offset1:216
	global_store_dwordx2 v[2:3], v[0:1], off
	s_clause 0x1
	buffer_load_dword v10, off, s[20:23], 0 offset:296
	buffer_load_dword v11, off, s[20:23], 0 offset:300
	v_add_co_u32 v2, vcc_lo, v2, s5
	v_add_co_ci_u32_e32 v3, vcc_lo, s4, v3, vcc_lo
	ds_read2_b64 v[24:27], v151 offset0:64 offset1:184
	s_waitcnt vmcnt(0) lgkmcnt(1)
	v_mul_f32_e32 v0, v11, v7
	v_fmac_f32_e32 v0, v10, v6
	v_cvt_f64_f32_e32 v[0:1], v0
	v_mul_f64 v[0:1], v[0:1], s[2:3]
	v_cvt_f32_f64_e32 v0, v[0:1]
	v_mul_f32_e32 v1, v11, v6
	v_fma_f32 v1, v10, v7, -v1
	v_cvt_f64_f32_e32 v[6:7], v1
	v_mul_f64 v[6:7], v[6:7], s[2:3]
	v_cvt_f32_f64_e32 v1, v[6:7]
	global_store_dwordx2 v[2:3], v[0:1], off
	s_clause 0x1
	buffer_load_dword v6, off, s[20:23], 0 offset:304
	buffer_load_dword v7, off, s[20:23], 0 offset:308
	s_waitcnt vmcnt(0) lgkmcnt(0)
	v_mul_f32_e32 v0, v7, v25
	v_fmac_f32_e32 v0, v6, v24
	v_cvt_f64_f32_e32 v[0:1], v0
	v_mul_f64 v[0:1], v[0:1], s[2:3]
	v_cvt_f32_f64_e32 v0, v[0:1]
	v_mul_f32_e32 v1, v7, v24
	v_fma_f32 v1, v6, v25, -v1
	v_cvt_f64_f32_e32 v[6:7], v1
	v_mul_f64 v[6:7], v[6:7], s[2:3]
	v_cvt_f32_f64_e32 v1, v[6:7]
	v_add_co_u32 v6, vcc_lo, v2, s5
	v_add_co_ci_u32_e32 v7, vcc_lo, s4, v3, vcc_lo
	global_store_dwordx2 v[6:7], v[0:1], off
	ds_read2_b64 v[0:3], v155 offset0:48 offset1:168
	s_clause 0x1
	buffer_load_dword v14, off, s[20:23], 0 offset:312
	buffer_load_dword v15, off, s[20:23], 0 offset:316
	s_waitcnt vmcnt(0) lgkmcnt(0)
	v_mul_f32_e32 v10, v15, v3
	v_fmac_f32_e32 v10, v14, v2
	v_mul_f32_e32 v2, v15, v2
	v_cvt_f64_f32_e32 v[10:11], v10
	v_fma_f32 v2, v14, v3, -v2
	v_cvt_f64_f32_e32 v[2:3], v2
	v_mul_f64 v[10:11], v[10:11], s[2:3]
	v_mul_f64 v[2:3], v[2:3], s[2:3]
	v_cvt_f32_f64_e32 v10, v[10:11]
	v_cvt_f32_f64_e32 v11, v[2:3]
	v_add_co_u32 v2, vcc_lo, v6, s5
	v_add_co_ci_u32_e32 v3, vcc_lo, s4, v7, vcc_lo
	global_store_dwordx2 v[2:3], v[10:11], off
	s_clause 0x1
	buffer_load_dword v10, off, s[20:23], 0 offset:132
	buffer_load_dword v11, off, s[20:23], 0 offset:136
	v_mad_u64_u32 v[2:3], null, 0xffff9e80, s0, v[2:3]
	v_add_nc_u32_e32 v3, s6, v3
	s_waitcnt vmcnt(0)
	v_mul_f32_e32 v6, v11, v31
	v_fmac_f32_e32 v6, v10, v30
	v_cvt_f64_f32_e32 v[6:7], v6
	v_mul_f64 v[6:7], v[6:7], s[2:3]
	v_cvt_f32_f64_e32 v6, v[6:7]
	v_mul_f32_e32 v7, v11, v30
	v_fma_f32 v7, v10, v31, -v7
	ds_read2_b64 v[30:33], v152 offset0:96 offset1:216
	v_cvt_f64_f32_e32 v[10:11], v7
	v_mul_f64 v[10:11], v[10:11], s[2:3]
	v_cvt_f32_f64_e32 v7, v[10:11]
	global_store_dwordx2 v[2:3], v[6:7], off
	s_clause 0x1
	buffer_load_dword v10, off, s[20:23], 0 offset:140
	buffer_load_dword v11, off, s[20:23], 0 offset:144
	v_add_co_u32 v2, vcc_lo, v2, s5
	v_add_co_ci_u32_e32 v3, vcc_lo, s4, v3, vcc_lo
	s_waitcnt vmcnt(0) lgkmcnt(0)
	v_mul_f32_e32 v6, v11, v31
	v_fmac_f32_e32 v6, v10, v30
	v_cvt_f64_f32_e32 v[6:7], v6
	v_mul_f64 v[6:7], v[6:7], s[2:3]
	v_cvt_f32_f64_e32 v6, v[6:7]
	v_mul_f32_e32 v7, v11, v30
	v_fma_f32 v7, v10, v31, -v7
	v_cvt_f64_f32_e32 v[10:11], v7
	v_mul_f64 v[10:11], v[10:11], s[2:3]
	v_cvt_f32_f64_e32 v7, v[10:11]
	global_store_dwordx2 v[2:3], v[6:7], off
	s_clause 0x1
	buffer_load_dword v10, off, s[20:23], 0 offset:100
	buffer_load_dword v11, off, s[20:23], 0 offset:104
	v_add_co_u32 v2, vcc_lo, v2, s5
	v_add_co_ci_u32_e32 v3, vcc_lo, s4, v3, vcc_lo
	s_waitcnt vmcnt(0)
	v_mul_f32_e32 v6, v11, v29
	v_fmac_f32_e32 v6, v10, v28
	v_cvt_f64_f32_e32 v[6:7], v6
	v_mul_f64 v[6:7], v[6:7], s[2:3]
	v_cvt_f32_f64_e32 v6, v[6:7]
	v_mul_f32_e32 v7, v11, v28
	v_fma_f32 v7, v10, v29, -v7
	ds_read2_b64 v[28:31], v150 offset0:48 offset1:168
	v_cvt_f64_f32_e32 v[10:11], v7
	v_mul_f64 v[10:11], v[10:11], s[2:3]
	v_cvt_f32_f64_e32 v7, v[10:11]
	global_store_dwordx2 v[2:3], v[6:7], off
	s_clause 0x1
	buffer_load_dword v10, off, s[20:23], 0 offset:108
	buffer_load_dword v11, off, s[20:23], 0 offset:112
	v_add_co_u32 v2, vcc_lo, v2, s5
	v_add_co_ci_u32_e32 v3, vcc_lo, s4, v3, vcc_lo
	s_waitcnt vmcnt(0) lgkmcnt(0)
	v_mul_f32_e32 v6, v11, v29
	v_fmac_f32_e32 v6, v10, v28
	v_cvt_f64_f32_e32 v[6:7], v6
	v_mul_f64 v[6:7], v[6:7], s[2:3]
	v_cvt_f32_f64_e32 v6, v[6:7]
	v_mul_f32_e32 v7, v11, v28
	v_fma_f32 v7, v10, v29, -v7
	v_cvt_f64_f32_e32 v[10:11], v7
	v_mul_f64 v[10:11], v[10:11], s[2:3]
	v_cvt_f32_f64_e32 v7, v[10:11]
	global_store_dwordx2 v[2:3], v[6:7], off
	s_clause 0x1
	buffer_load_dword v10, off, s[20:23], 0 offset:84
	buffer_load_dword v11, off, s[20:23], 0 offset:88
	v_add_co_u32 v2, vcc_lo, v2, s5
	v_add_co_ci_u32_e32 v3, vcc_lo, s4, v3, vcc_lo
	ds_read2_b64 v[18:21], v245 offset0:128 offset1:248
	s_waitcnt vmcnt(0)
	v_mul_f32_e32 v6, v11, v35
	v_fmac_f32_e32 v6, v10, v34
	v_cvt_f64_f32_e32 v[6:7], v6
	v_mul_f64 v[6:7], v[6:7], s[2:3]
	v_cvt_f32_f64_e32 v6, v[6:7]
	v_mul_f32_e32 v7, v11, v34
	v_fma_f32 v7, v10, v35, -v7
	v_cvt_f64_f32_e32 v[10:11], v7
	v_mul_f64 v[10:11], v[10:11], s[2:3]
	v_cvt_f32_f64_e32 v7, v[10:11]
	global_store_dwordx2 v[2:3], v[6:7], off
	s_clause 0x2
	buffer_load_dword v10, off, s[20:23], 0 offset:76
	buffer_load_dword v11, off, s[20:23], 0 offset:80
	;; [unrolled: 1-line block ×3, first 2 shown]
	v_mad_u64_u32 v[2:3], null, 0x1680, s0, v[2:3]
	s_waitcnt vmcnt(1) lgkmcnt(0)
	v_mul_f32_e32 v6, v11, v19
	v_fmac_f32_e32 v6, v10, v18
	v_cvt_f64_f32_e32 v[6:7], v6
	v_mul_f64 v[6:7], v[6:7], s[2:3]
	v_cvt_f32_f64_e32 v6, v[6:7]
	v_mul_f32_e32 v7, v11, v18
	v_fma_f32 v7, v10, v19, -v7
	v_cvt_f64_f32_e32 v[10:11], v7
	v_mul_f64 v[10:11], v[10:11], s[2:3]
	v_cvt_f32_f64_e32 v7, v[10:11]
	s_waitcnt vmcnt(0)
	v_mad_u64_u32 v[10:11], null, s0, v14, 0
	v_mad_u64_u32 v[14:15], null, s1, v14, v[11:12]
	v_mov_b32_e32 v11, v14
	v_lshlrev_b64 v[10:11], 3, v[10:11]
	v_add_co_u32 v10, vcc_lo, v36, v10
	v_add_co_ci_u32_e32 v11, vcc_lo, v37, v11, vcc_lo
	global_store_dwordx2 v[10:11], v[6:7], off
	s_clause 0x1
	buffer_load_dword v10, off, s[20:23], 0 offset:156
	buffer_load_dword v11, off, s[20:23], 0 offset:160
	s_waitcnt vmcnt(0)
	v_mul_f32_e32 v6, v11, v23
	v_fmac_f32_e32 v6, v10, v22
	v_cvt_f64_f32_e32 v[6:7], v6
	v_mul_f64 v[6:7], v[6:7], s[2:3]
	v_cvt_f32_f64_e32 v6, v[6:7]
	v_mul_f32_e32 v7, v11, v22
	v_fma_f32 v7, v10, v23, -v7
	ds_read2_b64 v[22:25], v148 offset0:80 offset1:200
	v_cvt_f64_f32_e32 v[10:11], v7
	v_mul_f64 v[10:11], v[10:11], s[2:3]
	v_cvt_f32_f64_e32 v7, v[10:11]
	v_mad_u64_u32 v[10:11], null, 0x1680, s1, v[3:4]
	v_mov_b32_e32 v3, v10
	global_store_dwordx2 v[2:3], v[6:7], off
	s_clause 0x1
	buffer_load_dword v10, off, s[20:23], 0 offset:148
	buffer_load_dword v11, off, s[20:23], 0 offset:152
	v_add_co_u32 v2, vcc_lo, v2, s5
	v_add_co_ci_u32_e32 v3, vcc_lo, s4, v3, vcc_lo
	s_waitcnt vmcnt(0) lgkmcnt(0)
	v_mul_f32_e32 v6, v11, v23
	v_fmac_f32_e32 v6, v10, v22
	v_cvt_f64_f32_e32 v[6:7], v6
	v_mul_f64 v[6:7], v[6:7], s[2:3]
	v_cvt_f32_f64_e32 v6, v[6:7]
	v_mul_f32_e32 v7, v11, v22
	v_fma_f32 v7, v10, v23, -v7
	v_cvt_f64_f32_e32 v[10:11], v7
	v_mul_f64 v[10:11], v[10:11], s[2:3]
	v_cvt_f32_f64_e32 v7, v[10:11]
	global_store_dwordx2 v[2:3], v[6:7], off
	s_clause 0x1
	buffer_load_dword v10, off, s[20:23], 0 offset:124
	buffer_load_dword v11, off, s[20:23], 0 offset:128
	v_add_co_u32 v2, vcc_lo, v2, s5
	v_add_co_ci_u32_e32 v3, vcc_lo, s4, v3, vcc_lo
	s_waitcnt vmcnt(0)
	v_mul_f32_e32 v6, v11, v27
	v_fmac_f32_e32 v6, v10, v26
	v_cvt_f64_f32_e32 v[6:7], v6
	v_mul_f64 v[6:7], v[6:7], s[2:3]
	v_cvt_f32_f64_e32 v6, v[6:7]
	v_mul_f32_e32 v7, v11, v26
	v_fma_f32 v7, v10, v27, -v7
	ds_read2_b64 v[26:29], v82 offset0:32 offset1:152
	v_cvt_f64_f32_e32 v[10:11], v7
	v_mul_f64 v[10:11], v[10:11], s[2:3]
	v_cvt_f32_f64_e32 v7, v[10:11]
	global_store_dwordx2 v[2:3], v[6:7], off
	s_clause 0x1
	buffer_load_dword v10, off, s[20:23], 0 offset:116
	buffer_load_dword v11, off, s[20:23], 0 offset:120
	v_add_co_u32 v2, vcc_lo, v2, s5
	v_add_co_ci_u32_e32 v3, vcc_lo, s4, v3, vcc_lo
	s_waitcnt vmcnt(0) lgkmcnt(0)
	v_mul_f32_e32 v6, v11, v27
	v_fmac_f32_e32 v6, v10, v26
	v_cvt_f64_f32_e32 v[6:7], v6
	v_mul_f64 v[6:7], v[6:7], s[2:3]
	v_cvt_f32_f64_e32 v6, v[6:7]
	v_mul_f32_e32 v7, v11, v26
	v_fma_f32 v7, v10, v27, -v7
	v_cvt_f64_f32_e32 v[10:11], v7
	v_mul_f64 v[10:11], v[10:11], s[2:3]
	v_cvt_f32_f64_e32 v7, v[10:11]
	global_store_dwordx2 v[2:3], v[6:7], off
	s_clause 0x1
	buffer_load_dword v10, off, s[20:23], 0 offset:92
	buffer_load_dword v11, off, s[20:23], 0 offset:96
	v_mad_u64_u32 v[2:3], null, 0xffff9e80, s0, v[2:3]
	v_add_nc_u32_e32 v3, s6, v3
	s_waitcnt vmcnt(0)
	v_mul_f32_e32 v6, v11, v17
	v_fmac_f32_e32 v6, v10, v16
	v_cvt_f64_f32_e32 v[6:7], v6
	v_mul_f64 v[6:7], v[6:7], s[2:3]
	v_cvt_f32_f64_e32 v6, v[6:7]
	v_mul_f32_e32 v7, v11, v16
	v_fma_f32 v7, v10, v17, -v7
	v_cvt_f64_f32_e32 v[10:11], v7
	v_mul_f64 v[10:11], v[10:11], s[2:3]
	v_cvt_f32_f64_e32 v7, v[10:11]
	global_store_dwordx2 v[2:3], v[6:7], off
	s_clause 0x1
	buffer_load_dword v10, off, s[20:23], 0 offset:64
	buffer_load_dword v11, off, s[20:23], 0 offset:68
	v_add_co_u32 v2, vcc_lo, v2, s5
	v_add_co_ci_u32_e32 v3, vcc_lo, s4, v3, vcc_lo
	s_waitcnt vmcnt(0)
	v_mul_f32_e32 v6, v11, v33
	v_fmac_f32_e32 v6, v10, v32
	v_cvt_f64_f32_e32 v[6:7], v6
	v_mul_f64 v[6:7], v[6:7], s[2:3]
	v_cvt_f32_f64_e32 v6, v[6:7]
	v_mul_f32_e32 v7, v11, v32
	v_fma_f32 v7, v10, v33, -v7
	v_cvt_f64_f32_e32 v[10:11], v7
	v_mul_f64 v[10:11], v[10:11], s[2:3]
	v_cvt_f32_f64_e32 v7, v[10:11]
	global_store_dwordx2 v[2:3], v[6:7], off
	s_clause 0x1
	buffer_load_dword v10, off, s[20:23], 0 offset:48
	buffer_load_dword v11, off, s[20:23], 0 offset:52
	v_add_co_u32 v2, vcc_lo, v2, s5
	v_add_co_ci_u32_e32 v3, vcc_lo, s4, v3, vcc_lo
	;; [unrolled: 17-line block ×5, first 2 shown]
	s_waitcnt vmcnt(0)
	v_mul_f32_e32 v6, v8, v21
	v_mov_b32_e32 v9, v8
	v_mov_b32_e32 v8, v7
	v_fmac_f32_e32 v6, v7, v20
	v_cvt_f64_f32_e32 v[6:7], v6
	v_mul_f64 v[6:7], v[6:7], s[2:3]
	v_cvt_f32_f64_e32 v6, v[6:7]
	v_mul_f32_e32 v7, v9, v20
	v_fma_f32 v7, v8, v21, -v7
	v_cvt_f64_f32_e32 v[7:8], v7
	v_mul_f64 v[7:8], v[7:8], s[2:3]
	v_cvt_f32_f64_e32 v7, v[7:8]
	global_store_dwordx2 v[2:3], v[6:7], off
	s_clause 0x1
	buffer_load_dword v7, off, s[20:23], 0 offset:24
	buffer_load_dword v8, off, s[20:23], 0 offset:28
	v_add_co_u32 v2, vcc_lo, v2, s5
	v_add_co_ci_u32_e32 v3, vcc_lo, s4, v3, vcc_lo
	s_waitcnt vmcnt(0)
	v_mul_f32_e32 v6, v8, v5
	v_mov_b32_e32 v9, v8
	v_mov_b32_e32 v8, v7
	v_fmac_f32_e32 v6, v7, v4
	v_mul_f32_e32 v4, v9, v4
	v_cvt_f64_f32_e32 v[6:7], v6
	v_fma_f32 v4, v8, v5, -v4
	v_cvt_f64_f32_e32 v[4:5], v4
	v_mul_f64 v[6:7], v[6:7], s[2:3]
	v_mul_f64 v[4:5], v[4:5], s[2:3]
	v_cvt_f32_f64_e32 v6, v[6:7]
	v_cvt_f32_f64_e32 v7, v[4:5]
	global_store_dwordx2 v[2:3], v[6:7], off
	s_clause 0x1
	buffer_load_dword v5, off, s[20:23], 0
	buffer_load_dword v6, off, s[20:23], 0 offset:4
	v_add_co_u32 v2, vcc_lo, v2, s5
	v_add_co_ci_u32_e32 v3, vcc_lo, s4, v3, vcc_lo
	s_waitcnt vmcnt(0)
	v_mul_f32_e32 v4, v6, v25
	v_mov_b32_e32 v7, v6
	v_mov_b32_e32 v6, v5
	v_fmac_f32_e32 v4, v5, v24
	v_cvt_f64_f32_e32 v[4:5], v4
	v_mul_f64 v[4:5], v[4:5], s[2:3]
	v_cvt_f32_f64_e32 v4, v[4:5]
	v_mul_f32_e32 v5, v7, v24
	v_fma_f32 v5, v6, v25, -v5
	v_cvt_f64_f32_e32 v[5:6], v5
	v_mul_f64 v[5:6], v[5:6], s[2:3]
	v_cvt_f32_f64_e32 v5, v[5:6]
	global_store_dwordx2 v[2:3], v[4:5], off
	s_clause 0x1
	buffer_load_dword v5, off, s[20:23], 0 offset:32
	buffer_load_dword v6, off, s[20:23], 0 offset:36
	s_waitcnt vmcnt(0)
	v_mul_f32_e32 v4, v6, v1
	v_mov_b32_e32 v7, v6
	v_mov_b32_e32 v6, v5
	v_fmac_f32_e32 v4, v5, v0
	v_mul_f32_e32 v0, v7, v0
	v_cvt_f64_f32_e32 v[4:5], v4
	v_fma_f32 v0, v6, v1, -v0
	v_cvt_f64_f32_e32 v[0:1], v0
	v_mul_f64 v[4:5], v[4:5], s[2:3]
	v_mul_f64 v[0:1], v[0:1], s[2:3]
	v_cvt_f32_f64_e32 v4, v[4:5]
	v_cvt_f32_f64_e32 v5, v[0:1]
	v_add_co_u32 v0, vcc_lo, v2, s5
	v_add_co_ci_u32_e32 v1, vcc_lo, s4, v3, vcc_lo
	global_store_dwordx2 v[0:1], v[4:5], off
	s_clause 0x1
	buffer_load_dword v3, off, s[20:23], 0 offset:40
	buffer_load_dword v4, off, s[20:23], 0 offset:44
	v_add_co_u32 v0, vcc_lo, v0, s5
	v_add_co_ci_u32_e32 v1, vcc_lo, s4, v1, vcc_lo
	s_waitcnt vmcnt(0)
	v_mul_f32_e32 v2, v4, v29
	v_mov_b32_e32 v5, v4
	v_mov_b32_e32 v4, v3
	v_fmac_f32_e32 v2, v3, v28
	v_cvt_f64_f32_e32 v[2:3], v2
	v_mul_f64 v[2:3], v[2:3], s[2:3]
	v_cvt_f32_f64_e32 v2, v[2:3]
	v_mul_f32_e32 v3, v5, v28
	v_fma_f32 v3, v4, v29, -v3
	v_cvt_f64_f32_e32 v[3:4], v3
	v_mul_f64 v[3:4], v[3:4], s[2:3]
	v_cvt_f32_f64_e32 v3, v[3:4]
	global_store_dwordx2 v[0:1], v[2:3], off
.LBB0_2:
	s_endpgm
	.section	.rodata,"a",@progbits
	.p2align	6, 0x0
	.amdhsa_kernel bluestein_single_back_len3600_dim1_sp_op_CI_CI
		.amdhsa_group_segment_fixed_size 28800
		.amdhsa_private_segment_fixed_size 324
		.amdhsa_kernarg_size 104
		.amdhsa_user_sgpr_count 6
		.amdhsa_user_sgpr_private_segment_buffer 1
		.amdhsa_user_sgpr_dispatch_ptr 0
		.amdhsa_user_sgpr_queue_ptr 0
		.amdhsa_user_sgpr_kernarg_segment_ptr 1
		.amdhsa_user_sgpr_dispatch_id 0
		.amdhsa_user_sgpr_flat_scratch_init 0
		.amdhsa_user_sgpr_private_segment_size 0
		.amdhsa_wavefront_size32 1
		.amdhsa_uses_dynamic_stack 0
		.amdhsa_system_sgpr_private_segment_wavefront_offset 1
		.amdhsa_system_sgpr_workgroup_id_x 1
		.amdhsa_system_sgpr_workgroup_id_y 0
		.amdhsa_system_sgpr_workgroup_id_z 0
		.amdhsa_system_sgpr_workgroup_info 0
		.amdhsa_system_vgpr_workitem_id 0
		.amdhsa_next_free_vgpr 256
		.amdhsa_next_free_sgpr 24
		.amdhsa_reserve_vcc 1
		.amdhsa_reserve_flat_scratch 0
		.amdhsa_float_round_mode_32 0
		.amdhsa_float_round_mode_16_64 0
		.amdhsa_float_denorm_mode_32 3
		.amdhsa_float_denorm_mode_16_64 3
		.amdhsa_dx10_clamp 1
		.amdhsa_ieee_mode 1
		.amdhsa_fp16_overflow 0
		.amdhsa_workgroup_processor_mode 1
		.amdhsa_memory_ordered 1
		.amdhsa_forward_progress 0
		.amdhsa_shared_vgpr_count 0
		.amdhsa_exception_fp_ieee_invalid_op 0
		.amdhsa_exception_fp_denorm_src 0
		.amdhsa_exception_fp_ieee_div_zero 0
		.amdhsa_exception_fp_ieee_overflow 0
		.amdhsa_exception_fp_ieee_underflow 0
		.amdhsa_exception_fp_ieee_inexact 0
		.amdhsa_exception_int_div_zero 0
	.end_amdhsa_kernel
	.text
.Lfunc_end0:
	.size	bluestein_single_back_len3600_dim1_sp_op_CI_CI, .Lfunc_end0-bluestein_single_back_len3600_dim1_sp_op_CI_CI
                                        ; -- End function
	.section	.AMDGPU.csdata,"",@progbits
; Kernel info:
; codeLenInByte = 30688
; NumSgprs: 26
; NumVgprs: 256
; ScratchSize: 324
; MemoryBound: 0
; FloatMode: 240
; IeeeMode: 1
; LDSByteSize: 28800 bytes/workgroup (compile time only)
; SGPRBlocks: 3
; VGPRBlocks: 31
; NumSGPRsForWavesPerEU: 26
; NumVGPRsForWavesPerEU: 256
; Occupancy: 4
; WaveLimiterHint : 1
; COMPUTE_PGM_RSRC2:SCRATCH_EN: 1
; COMPUTE_PGM_RSRC2:USER_SGPR: 6
; COMPUTE_PGM_RSRC2:TRAP_HANDLER: 0
; COMPUTE_PGM_RSRC2:TGID_X_EN: 1
; COMPUTE_PGM_RSRC2:TGID_Y_EN: 0
; COMPUTE_PGM_RSRC2:TGID_Z_EN: 0
; COMPUTE_PGM_RSRC2:TIDIG_COMP_CNT: 0
	.text
	.p2alignl 6, 3214868480
	.fill 48, 4, 3214868480
	.type	__hip_cuid_d39dbffee225f8b4,@object ; @__hip_cuid_d39dbffee225f8b4
	.section	.bss,"aw",@nobits
	.globl	__hip_cuid_d39dbffee225f8b4
__hip_cuid_d39dbffee225f8b4:
	.byte	0                               ; 0x0
	.size	__hip_cuid_d39dbffee225f8b4, 1

	.ident	"AMD clang version 19.0.0git (https://github.com/RadeonOpenCompute/llvm-project roc-6.4.0 25133 c7fe45cf4b819c5991fe208aaa96edf142730f1d)"
	.section	".note.GNU-stack","",@progbits
	.addrsig
	.addrsig_sym __hip_cuid_d39dbffee225f8b4
	.amdgpu_metadata
---
amdhsa.kernels:
  - .args:
      - .actual_access:  read_only
        .address_space:  global
        .offset:         0
        .size:           8
        .value_kind:     global_buffer
      - .actual_access:  read_only
        .address_space:  global
        .offset:         8
        .size:           8
        .value_kind:     global_buffer
      - .actual_access:  read_only
        .address_space:  global
        .offset:         16
        .size:           8
        .value_kind:     global_buffer
      - .actual_access:  read_only
        .address_space:  global
        .offset:         24
        .size:           8
        .value_kind:     global_buffer
      - .actual_access:  read_only
        .address_space:  global
        .offset:         32
        .size:           8
        .value_kind:     global_buffer
      - .offset:         40
        .size:           8
        .value_kind:     by_value
      - .address_space:  global
        .offset:         48
        .size:           8
        .value_kind:     global_buffer
      - .address_space:  global
        .offset:         56
        .size:           8
        .value_kind:     global_buffer
      - .address_space:  global
        .offset:         64
        .size:           8
        .value_kind:     global_buffer
      - .address_space:  global
        .offset:         72
        .size:           8
        .value_kind:     global_buffer
      - .offset:         80
        .size:           4
        .value_kind:     by_value
      - .address_space:  global
        .offset:         88
        .size:           8
        .value_kind:     global_buffer
      - .address_space:  global
        .offset:         96
        .size:           8
        .value_kind:     global_buffer
    .group_segment_fixed_size: 28800
    .kernarg_segment_align: 8
    .kernarg_segment_size: 104
    .language:       OpenCL C
    .language_version:
      - 2
      - 0
    .max_flat_workgroup_size: 120
    .name:           bluestein_single_back_len3600_dim1_sp_op_CI_CI
    .private_segment_fixed_size: 324
    .sgpr_count:     26
    .sgpr_spill_count: 0
    .symbol:         bluestein_single_back_len3600_dim1_sp_op_CI_CI.kd
    .uniform_work_group_size: 1
    .uses_dynamic_stack: false
    .vgpr_count:     256
    .vgpr_spill_count: 80
    .wavefront_size: 32
    .workgroup_processor_mode: 1
amdhsa.target:   amdgcn-amd-amdhsa--gfx1030
amdhsa.version:
  - 1
  - 2
...

	.end_amdgpu_metadata
